;; amdgpu-corpus repo=ROCm/rccl kind=compiled arch=gfx906 opt=O3
	.amdgcn_target "amdgcn-amd-amdhsa--gfx906"
	.amdhsa_code_object_version 6
	.text
	.p2align	2                               ; -- Begin function _ZN12_GLOBAL__N_17runRingIh13FuncPreMulSumIhE7ProtoLLLi0ELi1ELi0EEEviiP15ncclDevWorkColl
	.type	_ZN12_GLOBAL__N_17runRingIh13FuncPreMulSumIhE7ProtoLLLi0ELi1ELi0EEEviiP15ncclDevWorkColl,@function
_ZN12_GLOBAL__N_17runRingIh13FuncPreMulSumIhE7ProtoLLLi0ELi1ELi0EEEviiP15ncclDevWorkColl: ; @_ZN12_GLOBAL__N_17runRingIh13FuncPreMulSumIhE7ProtoLLLi0ELi1ELi0EEEviiP15ncclDevWorkColl
; %bb.0:
	s_waitcnt vmcnt(0) expcnt(0) lgkmcnt(0)
	s_or_saveexec_b64 s[4:5], -1
	buffer_store_dword v63, off, s[0:3], s32 offset:212 ; 4-byte Folded Spill
	s_mov_b64 exec, s[4:5]
	buffer_store_dword v40, off, s[0:3], s32 offset:56 ; 4-byte Folded Spill
	buffer_store_dword v41, off, s[0:3], s32 offset:52 ; 4-byte Folded Spill
	;; [unrolled: 1-line block ×14, first 2 shown]
	buffer_store_dword v62, off, s[0:3], s32 ; 4-byte Folded Spill
	v_writelane_b32 v63, s34, 0
	v_writelane_b32 v63, s35, 1
	;; [unrolled: 1-line block ×4, first 2 shown]
	v_mov_b32_e32 v29, v1
	v_mov_b32_e32 v4, v0
	s_trap 2
	flat_load_dword v8, v[2:3]
	flat_load_dwordx4 v[32:35], v[2:3] offset:72
	flat_load_dwordx2 v[0:1], v[2:3] offset:88
	s_waitcnt vmcnt(0) lgkmcnt(0)
	v_not_b32_sdwa v7, v8 dst_sel:DWORD dst_unused:UNUSED_PAD src0_sel:BYTE_0
	v_add_u32_sdwa v5, v8, v7 dst_sel:DWORD dst_unused:UNUSED_PAD src0_sel:BYTE_1 src1_sel:DWORD
	ds_read_b32 v6, v0
	ds_read_b64 v[23:24], v0
	v_ashrrev_i32_e32 v9, 31, v5
	v_mul_lo_u32 v10, v35, v5
	v_mad_u64_u32 v[17:18], s[4:5], v34, v5, 0
	v_mul_lo_u32 v5, v34, v9
	s_waitcnt lgkmcnt(1)
	v_readfirstlane_b32 s20, v6
	v_cmp_ne_u32_sdwa s[4:5], v6, v8 src0_sel:DWORD src1_sel:BYTE_0
	v_add3_u32 v5, v18, v5, v10
                                        ; implicit-def: $vgpr18_vgpr19
                                        ; implicit-def: $vgpr9_vgpr10
                                        ; kill: killed $vgpr9_vgpr10
	s_and_saveexec_b64 s[6:7], s[4:5]
	s_xor_b64 s[4:5], exec, s[6:7]
	s_cbranch_execz .LBB0_6
; %bb.1:
	v_cmp_ne_u32_sdwa s[6:7], v6, v8 src0_sel:DWORD src1_sel:BYTE_1
                                        ; implicit-def: $vgpr18_vgpr19
                                        ; implicit-def: $vgpr8_vgpr9
                                        ; kill: killed $vgpr8_vgpr9
	s_and_saveexec_b64 s[10:11], s[6:7]
	s_xor_b64 s[6:7], exec, s[10:11]
	s_cbranch_execz .LBB0_3
; %bb.2:
	flat_load_dwordx2 v[8:9], v[2:3] offset:96
	v_add_u32_e32 v6, v6, v7
	v_ashrrev_i32_e32 v7, 31, v6
	v_mul_lo_u32 v7, v34, v7
	v_mul_lo_u32 v10, v35, v6
	v_mad_u64_u32 v[11:12], s[10:11], v34, v6, v[32:33]
	v_add3_u32 v12, v10, v12, v7
	buffer_store_dword v11, off, s[0:3], s32 offset:116 ; 4-byte Folded Spill
	s_nop 0
	buffer_store_dword v12, off, s[0:3], s32 offset:120 ; 4-byte Folded Spill
	s_waitcnt vmcnt(0) lgkmcnt(0)
	v_lshrrev_b64 v[18:19], 17, v[8:9]
.LBB0_3:
	s_andn2_saveexec_b64 s[6:7], s[6:7]
	s_cbranch_execz .LBB0_5
; %bb.4:
	flat_load_dword v6, v[2:3] offset:100
	v_add_co_u32_e32 v7, vcc, v17, v32
	v_mov_b32_e32 v35, v1
	v_addc_co_u32_e32 v8, vcc, v5, v33, vcc
	v_mov_b32_e32 v34, v0
	buffer_store_dword v7, off, s[0:3], s32 offset:116 ; 4-byte Folded Spill
	s_nop 0
	buffer_store_dword v8, off, s[0:3], s32 offset:120 ; 4-byte Folded Spill
	s_waitcnt vmcnt(0) lgkmcnt(0)
	v_lshrrev_b32_e32 v18, 6, v6
.LBB0_5:
	s_or_b64 exec, exec, s[6:7]
.LBB0_6:
	s_andn2_saveexec_b64 s[4:5], s[4:5]
	s_cbranch_execz .LBB0_8
; %bb.7:
	flat_load_dwordx2 v[6:7], v[2:3] offset:96
	v_mov_b32_e32 v35, v33
	v_mov_b32_e32 v34, v32
	s_waitcnt vmcnt(0) lgkmcnt(0)
	v_lshlrev_b64 v[18:19], 4, v[6:7]
	v_mov_b32_e32 v6, 0
	v_mov_b32_e32 v7, 0
	buffer_store_dword v6, off, s[0:3], s32 offset:116 ; 4-byte Folded Spill
	s_nop 0
	buffer_store_dword v7, off, s[0:3], s32 offset:120 ; 4-byte Folded Spill
.LBB0_8:
	s_or_b64 exec, exec, s[4:5]
	flat_load_dwordx2 v[27:28], v[2:3] offset:104
	flat_load_ushort v7, v[2:3] offset:8
	flat_load_dword v6, v[2:3] offset:4
	flat_load_dwordx4 v[8:11], v[2:3] offset:16
	s_load_dword s4, s[8:9], 0x0
	v_mov_b32_e32 v3, 0
	s_mov_b32 s6, 0
	s_waitcnt vmcnt(0) lgkmcnt(0)
	buffer_store_dword v8, off, s[0:3], s32 offset:148 ; 4-byte Folded Spill
	s_nop 0
	buffer_store_dword v9, off, s[0:3], s32 offset:152 ; 4-byte Folded Spill
	buffer_store_dword v10, off, s[0:3], s32 offset:156 ; 4-byte Folded Spill
	;; [unrolled: 1-line block ×3, first 2 shown]
	s_cmp_lt_u32 s12, s4
	s_cselect_b32 s4, 12, 18
	s_add_u32 s4, s8, s4
	s_addc_u32 s5, s9, 0
	global_load_ushort v19, v3, s[4:5]
	s_trap 2
	ds_read_b32 v2, v0
	v_lshrrev_b64 v[6:7], 31, v[6:7]
	v_mov_b32_e32 v11, 0
	v_and_b32_e32 v7, 3, v6
	v_and_b32_e32 v6, 63, v4
	s_waitcnt lgkmcnt(0)
	v_cmp_gt_i32_e32 vcc, 0, v2
	v_readfirstlane_b32 s8, v2
	v_mov_b32_e32 v12, 0
	v_cmp_eq_u32_e64 s[4:5], 0, v6
	s_cbranch_vccnz .LBB0_10
; %bb.9:
	s_trap 2
	ds_read_b64 v[8:9], v0
	v_lshlrev_b64 v[2:3], 3, v[2:3]
	s_movk_i32 s6, 0xa8
	s_waitcnt lgkmcnt(0)
	v_add_co_u32_e32 v2, vcc, v8, v2
	v_addc_co_u32_e32 v3, vcc, v9, v3, vcc
	flat_load_dwordx2 v[2:3], v[2:3]
	v_and_b32_e32 v8, 0xffff, v7
	s_waitcnt vmcnt(0) lgkmcnt(0)
	v_mad_u64_u32 v[2:3], s[6:7], v8, s6, v[2:3]
	s_mov_b32 s6, 1
	flat_load_dwordx2 v[8:9], v[2:3] offset:504
	v_add_co_u32_e32 v25, vcc, 0x1f8, v2
	v_addc_co_u32_e32 v26, vcc, 0, v3, vcc
	s_waitcnt vmcnt(0) lgkmcnt(0)
	buffer_store_dword v8, off, s[0:3], s32 offset:72 ; 4-byte Folded Spill
	s_nop 0
	buffer_store_dword v9, off, s[0:3], s32 offset:76 ; 4-byte Folded Spill
	flat_load_dwordx2 v[36:37], v[2:3] offset:608
	v_cndmask_b32_e64 v3, 0, v26, s[4:5]
	v_cndmask_b32_e64 v2, 0, v25, s[4:5]
	s_branch .LBB0_11
.LBB0_10:
	v_mov_b32_e32 v25, 0
	v_mov_b32_e32 v2, 0
	;; [unrolled: 1-line block ×4, first 2 shown]
                                        ; implicit-def: $vgpr36_vgpr37
                                        ; implicit-def: $vgpr8_vgpr9
                                        ; kill: killed $vgpr8_vgpr9
.LBB0_11:
	s_trap 2
	ds_read_b32 v9, v0
	s_waitcnt lgkmcnt(0)
	v_cmp_gt_i32_e32 vcc, 0, v9
	s_cbranch_vccnz .LBB0_13
; %bb.12:
	s_trap 2
	ds_read_b64 v[11:12], v0
	v_mov_b32_e32 v10, 0
	v_lshlrev_b64 v[8:9], 3, v[9:10]
	v_and_b32_e32 v7, 0xffff, v7
	s_movk_i32 s4, 0xa8
	s_waitcnt lgkmcnt(0)
	v_add_co_u32_e32 v8, vcc, v11, v8
	v_addc_co_u32_e32 v9, vcc, v12, v9, vcc
	flat_load_dwordx2 v[8:9], v[8:9]
	v_cmp_eq_u32_e32 vcc, 0, v6
	s_waitcnt vmcnt(0) lgkmcnt(0)
	v_mad_u64_u32 v[11:12], s[4:5], v7, s4, v[8:9]
	flat_load_dwordx2 v[38:39], v[11:12]
	flat_load_dwordx2 v[21:22], v[11:12] offset:104
	v_cndmask_b32_e32 v10, 0, v12, vcc
	v_cndmask_b32_e32 v9, 0, v11, vcc
	s_branch .LBB0_14
.LBB0_13:
	v_mov_b32_e32 v9, 0
	v_mov_b32_e32 v10, 0
                                        ; implicit-def: $vgpr21_vgpr22
                                        ; implicit-def: $vgpr38_vgpr39
.LBB0_14:
	v_subrev_u32_e32 v7, 64, v29
	v_cmp_ge_i32_e32 vcc, v4, v7
	v_cmp_gt_u32_e64 s[4:5], s6, v6
	v_mov_b32_e32 v13, 0
	v_mov_b32_e32 v6, 0
	;; [unrolled: 1-line block ×4, first 2 shown]
	s_and_b64 s[22:23], vcc, s[4:5]
	buffer_store_dword v6, off, s[0:3], s32 offset:64 ; 4-byte Folded Spill
	s_nop 0
	buffer_store_dword v7, off, s[0:3], s32 offset:68 ; 4-byte Folded Spill
                                        ; implicit-def: $vgpr48_vgpr49
	s_and_saveexec_b64 s[4:5], s[22:23]
	s_cbranch_execz .LBB0_16
; %bb.15:
	flat_load_dwordx2 v[6:7], v[2:3] offset:56
	s_waitcnt vmcnt(0) lgkmcnt(0)
	buffer_store_dword v6, off, s[0:3], s32 offset:64 ; 4-byte Folded Spill
	s_nop 0
	buffer_store_dword v7, off, s[0:3], s32 offset:68 ; 4-byte Folded Spill
	flat_load_dwordx2 v[48:49], v[2:3] offset:104
.LBB0_16:
	s_or_b64 exec, exec, s[4:5]
	v_mov_b32_e32 v52, 0
	v_mov_b32_e32 v53, 0
	v_cmp_gt_u32_e64 s[4:5], s6, v4
                                        ; implicit-def: $vgpr54_vgpr55
	s_and_saveexec_b64 s[6:7], s[4:5]
	s_cbranch_execz .LBB0_18
; %bb.17:
	flat_load_dwordx2 v[52:53], v[9:10] offset:56
	s_waitcnt vmcnt(0) lgkmcnt(0)
	flat_load_dwordx2 v[54:55], v[52:53] glc
	s_waitcnt vmcnt(0)
	flat_load_dwordx4 v[13:16], v[9:10] offset:96
.LBB0_18:
	s_or_b64 exec, exec, s[6:7]
	v_mov_b32_e32 v44, 0
	v_cmp_ne_u64_e32 vcc, 0, v[34:35]
	v_mov_b32_e32 v45, 0
	s_and_saveexec_b64 s[24:25], vcc
	s_cbranch_execz .LBB0_210
; %bb.19:
	v_add_co_u32_e32 v0, vcc, v0, v32
	s_ashr_i32 s6, s8, 31
	v_addc_co_u32_e32 v1, vcc, v1, v33, vcc
	s_lshr_b32 s6, s6, 29
	v_add_co_u32_e32 v3, vcc, v0, v17
	s_ashr_i32 s21, s20, 31
	s_add_i32 s8, s8, s6
	v_addc_co_u32_e32 v0, vcc, v1, v5, vcc
	s_lshl_b64 s[6:7], s[20:21], 2
	buffer_store_dword v25, off, s[0:3], s32 offset:204 ; 4-byte Folded Spill
	s_nop 0
	buffer_store_dword v26, off, s[0:3], s32 offset:208 ; 4-byte Folded Spill
	buffer_store_dword v11, off, s[0:3], s32 offset:196 ; 4-byte Folded Spill
	s_nop 0
	buffer_store_dword v12, off, s[0:3], s32 offset:200 ; 4-byte Folded Spill
	buffer_store_dword v0, off, s[0:3], s32 offset:60 ; 4-byte Folded Spill
	v_mov_b32_e32 v0, s7
	v_add_co_u32_e32 v1, vcc, s6, v23
	v_addc_co_u32_e32 v0, vcc, v24, v0, vcc
	v_add_co_u32_e32 v5, vcc, -4, v1
	v_addc_co_u32_e32 v6, vcc, -1, v0, vcc
	v_and_b32_e32 v0, 63, v31
	v_cmp_eq_u32_e64 s[12:13], 0, v0
	v_lshrrev_b32_e32 v0, 6, v29
	buffer_store_dword v5, off, s[0:3], s32 offset:132 ; 4-byte Folded Spill
	s_nop 0
	buffer_store_dword v6, off, s[0:3], s32 offset:136 ; 4-byte Folded Spill
	s_waitcnt vmcnt(0)
	buffer_store_dword v19, off, s[0:3], s32 offset:192 ; 4-byte Folded Spill
	buffer_store_dword v31, off, s[0:3], s32 offset:188 ; 4-byte Folded Spill
	buffer_store_dword v0, off, s[0:3], s32 offset:84 ; 4-byte Folded Spill
	buffer_load_dword v8, off, s[0:3], s32 offset:148 ; 4-byte Folded Reload
	buffer_load_dword v9, off, s[0:3], s32 offset:152 ; 4-byte Folded Reload
	;; [unrolled: 1-line block ×4, first 2 shown]
	v_lshlrev_b32_e32 v5, 3, v4
	v_mov_b32_e32 v2, 0
	s_ashr_i32 s10, s8, 3
	v_lshlrev_b64 v[56:57], 24, v[27:28]
	s_ashr_i32 s92, s8, 7
	s_and_b32 s21, s10, -16
	v_lshlrev_b64 v[57:58], 16, v[27:28]
	v_mov_b32_e32 v30, v2
	v_cmp_ne_u64_e64 s[6:7], 0, v[52:53]
	s_waitcnt lgkmcnt(0)
	v_cmp_ne_u64_e64 s[8:9], 0, v[13:14]
	v_lshlrev_b64 v[46:47], 8, v[27:28]
	s_cmp_gt_i32 s20, 2
	v_mov_b32_e32 v58, 0
	v_mov_b32_e32 v44, 0
	v_and_b32_e32 v41, 0x1fffff0, v18
	s_mov_b32 s27, 0
	v_mov_b32_e32 v42, v2
	s_mov_b64 s[28:29], 0
	v_cmp_ne_u32_e64 s[10:11], 64, v29
	v_cmp_ne_u32_sdwa s[40:41], v29, v19 src0_sel:DWORD src1_sel:WORD_0
	v_lshlrev_b32_e32 v7, 3, v29
	s_cselect_b64 s[42:43], -1, 0
	v_lshlrev_b32_e32 v28, 6, v29
	s_mov_b64 s[44:45], 0x7ffffff8
	s_mov_b32 s93, 0xff00
	s_mov_b32 s94, 0xc060c00
	;; [unrolled: 1-line block ×3, first 2 shown]
	s_movk_i32 s30, 0xff
	s_mov_b32 s31, 0x7020500
	s_mov_b32 s34, 0x70c010c
	v_mov_b32_e32 v47, 0
	v_mov_b32_e32 v59, 0
	;; [unrolled: 1-line block ×3, first 2 shown]
	s_waitcnt vmcnt(1)
	v_add_co_u32_e32 v0, vcc, v10, v5
	buffer_store_dword v0, off, s[0:3], s32 offset:164 ; 4-byte Folded Spill
	s_waitcnt vmcnt(1)
	v_addc_co_u32_e32 v0, vcc, 0, v11, vcc
	buffer_store_dword v0, off, s[0:3], s32 offset:168 ; 4-byte Folded Spill
	buffer_load_dword v0, off, s[0:3], s32 offset:64 ; 4-byte Folded Reload
	s_nop 0
	buffer_load_dword v1, off, s[0:3], s32 offset:68 ; 4-byte Folded Reload
	s_waitcnt vmcnt(0)
	v_cmp_ne_u64_e64 s[14:15], 0, v[0:1]
	v_add_co_u32_e32 v0, vcc, v8, v5
	buffer_store_dword v0, off, s[0:3], s32 offset:172 ; 4-byte Folded Spill
	v_addc_co_u32_e32 v0, vcc, 0, v9, vcc
	buffer_store_dword v0, off, s[0:3], s32 offset:176 ; 4-byte Folded Spill
	buffer_load_dword v0, off, s[0:3], s32 offset:116 ; 4-byte Folded Reload
	s_nop 0
	buffer_load_dword v1, off, s[0:3], s32 offset:120 ; 4-byte Folded Reload
	v_mov_b32_e32 v8, v34
	buffer_store_dword v5, off, s[0:3], s32 offset:112 ; 4-byte Folded Spill
	v_mov_b32_e32 v9, v35
	s_waitcnt vmcnt(2)
	v_add_co_u32_e32 v0, vcc, v0, v10
	s_waitcnt vmcnt(1)
	v_addc_co_u32_e32 v1, vcc, v1, v11, vcc
	v_add_co_u32_e32 v60, vcc, v0, v5
	v_mov_b32_e32 v5, v2
	v_addc_co_u32_e32 v61, vcc, 0, v1, vcc
	v_lshlrev_b64 v[0:1], 4, v[4:5]
	v_lshlrev_b64 v[5:6], 4, v[29:30]
	v_add_co_u32_e32 v0, vcc, v38, v0
	buffer_store_dword v0, off, s[0:3], s32 offset:180 ; 4-byte Folded Spill
	v_addc_co_u32_e32 v0, vcc, v39, v1, vcc
	buffer_store_dword v0, off, s[0:3], s32 offset:184 ; 4-byte Folded Spill
	buffer_store_dword v6, off, s[0:3], s32 offset:96 ; 4-byte Folded Spill
	s_nop 0
	buffer_store_dword v7, off, s[0:3], s32 offset:100 ; 4-byte Folded Spill
	buffer_store_dword v8, off, s[0:3], s32 offset:104 ; 4-byte Folded Spill
	;; [unrolled: 1-line block ×4, first 2 shown]
	s_nop 0
	buffer_store_dword v42, off, s[0:3], s32 offset:128 ; 4-byte Folded Spill
	s_branch .LBB0_21
.LBB0_20:                               ;   in Loop: Header=BB0_21 Depth=1
	s_or_b64 exec, exec, s[16:17]
	v_add_co_u32_e32 v36, vcc, 1, v36
	v_addc_co_u32_e32 v37, vcc, 0, v37, vcc
	s_waitcnt vmcnt(0)
	v_add_co_u32_e32 v58, vcc, v58, v41
	v_addc_co_u32_e32 v59, vcc, 0, v59, vcc
	v_add_co_u32_e32 v60, vcc, v60, v41
	v_addc_co_u32_e32 v61, vcc, 0, v61, vcc
	v_cmp_ge_u64_e32 vcc, v[58:59], v[34:35]
	s_or_b64 s[28:29], vcc, s[28:29]
	s_andn2_b64 exec, exec, s[28:29]
	s_cbranch_execz .LBB0_209
.LBB0_21:                               ; =>This Loop Header: Depth=1
                                        ;     Child Loop BB0_26 Depth 2
                                        ;     Child Loop BB0_45 Depth 2
	;; [unrolled: 1-line block ×5, first 2 shown]
                                        ;       Child Loop BB0_75 Depth 3
                                        ;       Child Loop BB0_94 Depth 3
                                        ;       Child Loop BB0_110 Depth 3
                                        ;         Child Loop BB0_118 Depth 4
                                        ;       Child Loop BB0_132 Depth 3
                                        ;       Child Loop BB0_141 Depth 3
                                        ;     Child Loop BB0_153 Depth 2
                                        ;       Child Loop BB0_161 Depth 3
                                        ;     Child Loop BB0_195 Depth 2
	s_waitcnt lgkmcnt(0)
	buffer_load_dword v0, off, s[0:3], s32 offset:132 ; 4-byte Folded Reload
	buffer_load_dword v1, off, s[0:3], s32 offset:136 ; 4-byte Folded Reload
	s_waitcnt vmcnt(0)
	flat_load_dword v17, v[0:1]
	v_sub_co_u32_e32 v0, vcc, v34, v58
	v_subb_co_u32_e32 v1, vcc, v35, v59, vcc
	v_cmp_lt_u64_e32 vcc, v[41:42], v[0:1]
	v_cndmask_b32_e32 v0, v0, v41, vcc
	v_lshl_add_u32 v1, v0, 1, 14
	v_and_b32_e32 v1, 0x7fffff0, v1
	buffer_store_dword v1, off, s[0:3], s32 offset:80 ; 4-byte Folded Spill
	s_and_saveexec_b64 s[18:19], s[6:7]
	s_cbranch_execz .LBB0_37
; %bb.22:                               ;   in Loop: Header=BB0_21 Depth=1
	v_add_co_u32_e32 v11, vcc, 1, v15
	v_addc_co_u32_e32 v12, vcc, 0, v16, vcc
	v_add_co_u32_e32 v8, vcc, 8, v54
	v_addc_co_u32_e32 v9, vcc, 0, v55, vcc
	v_cmp_lt_u64_e32 vcc, v[8:9], v[11:12]
	s_and_saveexec_b64 s[46:47], vcc
	s_cbranch_execz .LBB0_34
; %bb.23:                               ;   in Loop: Header=BB0_21 Depth=1
	s_mov_b32 s26, 0
	v_cmp_eq_u32_e32 vcc, 0, v47
	s_mov_b64 s[56:57], 0
                                        ; implicit-def: $sgpr58_sgpr59
                                        ; implicit-def: $sgpr60_sgpr61
                                        ; implicit-def: $sgpr62_sgpr63
	s_branch .LBB0_26
.LBB0_24:                               ;   in Loop: Header=BB0_26 Depth=2
	s_or_b64 exec, exec, s[88:89]
	s_andn2_b64 s[16:17], s[62:63], exec
	s_and_b64 s[62:63], s[76:77], exec
	s_or_b64 s[62:63], s[16:17], s[62:63]
	s_andn2_b64 s[16:17], s[60:61], exec
	s_and_b64 s[60:61], s[74:75], exec
	s_or_b64 s[60:61], s[16:17], s[60:61]
.LBB0_25:                               ;   in Loop: Header=BB0_26 Depth=2
	s_or_b64 exec, exec, s[72:73]
	s_and_b64 s[16:17], exec, s[60:61]
	s_or_b64 s[56:57], s[16:17], s[56:57]
	s_andn2_b64 s[16:17], s[58:59], exec
	s_and_b64 s[58:59], s[62:63], exec
	s_or_b64 s[58:59], s[16:17], s[58:59]
	s_andn2_b64 exec, exec, s[56:57]
	s_cbranch_execz .LBB0_31
.LBB0_26:                               ;   Parent Loop BB0_21 Depth=1
                                        ; =>  This Inner Loop Header: Depth=2
	s_sleep 1
	s_waitcnt vmcnt(0) lgkmcnt(0)
	flat_load_dwordx2 v[54:55], v[52:53] glc
	v_mov_b32_e32 v47, 1
	s_or_b64 s[62:63], s[62:63], exec
	s_or_b64 s[60:61], s[60:61], exec
                                        ; implicit-def: $vgpr1
	s_and_saveexec_b64 s[72:73], vcc
	s_cbranch_execz .LBB0_25
; %bb.27:                               ;   in Loop: Header=BB0_26 Depth=2
	s_add_i32 s26, s26, 1
	s_cmpk_lg_i32 s26, 0x2710
	s_cselect_b64 s[78:79], -1, 0
	s_cmpk_eq_i32 s26, 0x2710
	s_mov_b64 s[74:75], -1
	s_mov_b64 s[76:77], -1
                                        ; implicit-def: $vgpr1
	s_cbranch_scc1 .LBB0_29
; %bb.28:                               ;   in Loop: Header=BB0_26 Depth=2
	v_mov_b32_e32 v47, 1
	s_and_saveexec_b64 s[88:89], s[78:79]
	s_cbranch_execz .LBB0_24
	s_branch .LBB0_30
.LBB0_29:                               ;   in Loop: Header=BB0_26 Depth=2
	s_trap 2
	ds_read_b64 v[8:9], v0
	s_andn2_b64 s[78:79], s[78:79], exec
	s_mov_b32 s26, 0
	s_mov_b64 s[76:77], 0
	s_waitcnt vmcnt(0) lgkmcnt(0)
	flat_load_dword v1, v[8:9] glc
	s_waitcnt vmcnt(0) lgkmcnt(0)
	buffer_wbinvl1_vol
	v_cmp_eq_u32_e64 s[16:17], 0, v1
	s_and_b64 s[16:17], s[16:17], exec
	s_or_b64 s[78:79], s[78:79], s[16:17]
	v_mov_b32_e32 v47, 1
	s_and_saveexec_b64 s[88:89], s[78:79]
	s_cbranch_execz .LBB0_24
.LBB0_30:                               ;   in Loop: Header=BB0_26 Depth=2
	s_waitcnt vmcnt(0) lgkmcnt(0)
	v_add_co_u32_e64 v8, s[16:17], 8, v54
	v_addc_co_u32_e64 v9, s[16:17], 0, v55, s[16:17]
	v_cmp_ge_u64_e64 s[16:17], v[8:9], v[11:12]
	v_mov_b32_e32 v47, 0
	s_or_b64 s[76:77], s[76:77], exec
	s_orn2_b64 s[74:75], s[16:17], exec
	s_branch .LBB0_24
.LBB0_31:                               ;   in Loop: Header=BB0_21 Depth=1
	s_or_b64 exec, exec, s[56:57]
	s_xor_b64 s[16:17], s[58:59], -1
	s_and_saveexec_b64 s[56:57], s[16:17]
	s_xor_b64 s[16:17], exec, s[56:57]
	s_cbranch_execz .LBB0_33
; %bb.32:                               ;   in Loop: Header=BB0_21 Depth=1
	v_mov_b32_e32 v47, 1
	s_waitcnt lgkmcnt(0)
	ds_write_b32 v0, v1
	s_trap 2
.LBB0_33:                               ;   in Loop: Header=BB0_21 Depth=1
	s_or_b64 exec, exec, s[16:17]
.LBB0_34:                               ;   in Loop: Header=BB0_21 Depth=1
	s_or_b64 exec, exec, s[46:47]
	s_and_saveexec_b64 s[16:17], s[8:9]
	s_cbranch_execz .LBB0_36
; %bb.35:                               ;   in Loop: Header=BB0_21 Depth=1
	v_and_b32_e32 v1, 0x7ffffff8, v15
	v_cmp_eq_u64_e32 vcc, s[44:45], v[1:2]
	buffer_load_dword v1, off, s[0:3], s32 offset:80 ; 4-byte Folded Reload
	v_and_b32_e32 v8, 7, v15
	v_mad_u64_u32 v[8:9], s[46:47], v8, 24, v[13:14]
	v_mov_b32_e32 v10, s21
	s_waitcnt vmcnt(0)
	v_cndmask_b32_e32 v15, v1, v10, vcc
	v_ashrrev_i32_e32 v16, 31, v15
	flat_store_dwordx2 v[8:9], v[15:16] offset:8
	s_waitcnt vmcnt(0)
.LBB0_36:                               ;   in Loop: Header=BB0_21 Depth=1
	s_or_b64 exec, exec, s[16:17]
	v_mov_b32_e32 v16, v12
	v_mov_b32_e32 v15, v11
.LBB0_37:                               ;   in Loop: Header=BB0_21 Depth=1
	s_or_b64 exec, exec, s[18:19]
	s_and_saveexec_b64 s[16:17], s[10:11]
	s_cbranch_execz .LBB0_56
; %bb.38:                               ;   in Loop: Header=BB0_21 Depth=1
	s_and_saveexec_b64 s[18:19], s[40:41]
	s_xor_b64 s[18:19], exec, s[18:19]
	s_cbranch_execz .LBB0_53
; %bb.39:                               ;   in Loop: Header=BB0_21 Depth=1
	s_and_saveexec_b64 s[46:47], s[12:13]
	s_cbranch_execz .LBB0_52
; %bb.40:                               ;   in Loop: Header=BB0_21 Depth=1
	s_mov_b64 s[58:59], exec
	v_mbcnt_lo_u32_b32 v1, s58, 0
	v_mbcnt_hi_u32_b32 v1, s59, v1
	v_cmp_eq_u32_e32 vcc, 0, v1
	s_waitcnt vmcnt(0) lgkmcnt(0)
	buffer_wbinvl1_vol
	s_and_saveexec_b64 s[56:57], vcc
	s_cbranch_execz .LBB0_42
; %bb.41:                               ;   in Loop: Header=BB0_21 Depth=1
	s_bcnt1_i32_b64 s26, s[58:59]
	v_mov_b32_e32 v1, s26
	ds_add_u64 v0, v[1:2]
	s_trap 2
.LBB0_42:                               ;   in Loop: Header=BB0_21 Depth=1
	s_or_b64 exec, exec, s[56:57]
	s_trap 2
	ds_read_b64 v[8:9], v0
	s_waitcnt lgkmcnt(0)
	buffer_load_dword v1, off, s[0:3], s32 offset:84 ; 4-byte Folded Reload
	s_waitcnt vmcnt(0)
	v_add_co_u32_e32 v44, vcc, v44, v1
	v_addc_co_u32_e32 v45, vcc, 0, v45, vcc
	v_cmp_lt_u64_e32 vcc, v[8:9], v[44:45]
	s_and_saveexec_b64 s[56:57], vcc
	s_cbranch_execz .LBB0_51
; %bb.43:                               ;   in Loop: Header=BB0_21 Depth=1
	s_mov_b32 s26, 0
	s_mov_b64 s[58:59], 0
                                        ; implicit-def: $sgpr60_sgpr61
                                        ; implicit-def: $sgpr62_sgpr63
	s_branch .LBB0_45
.LBB0_44:                               ;   in Loop: Header=BB0_45 Depth=2
	s_or_b64 exec, exec, s[74:75]
	s_and_b64 s[72:73], exec, s[76:77]
	s_or_b64 s[58:59], s[72:73], s[58:59]
	s_andn2_b64 s[60:61], s[60:61], exec
	s_and_b64 s[72:73], s[62:63], exec
	s_or_b64 s[60:61], s[60:61], s[72:73]
	s_andn2_b64 exec, exec, s[58:59]
	s_cbranch_execz .LBB0_49
.LBB0_45:                               ;   Parent Loop BB0_21 Depth=1
                                        ; =>  This Inner Loop Header: Depth=2
	s_add_i32 s26, s26, 1
	s_cmpk_lg_i32 s26, 0x2710
	s_cselect_b64 s[72:73], -1, 0
	s_and_b64 vcc, exec, s[72:73]
	s_cbranch_vccz .LBB0_47
; %bb.46:                               ;   in Loop: Header=BB0_45 Depth=2
	s_mov_b64 s[76:77], -1
	s_or_b64 s[62:63], s[62:63], exec
	s_and_saveexec_b64 s[74:75], s[72:73]
	s_cbranch_execz .LBB0_44
	s_branch .LBB0_48
.LBB0_47:                               ;   in Loop: Header=BB0_45 Depth=2
	s_trap 2
	ds_read_b64 v[8:9], v0
	s_andn2_b64 s[72:73], s[72:73], exec
	s_mov_b32 s26, 0
	s_waitcnt lgkmcnt(0)
	flat_load_dword v1, v[8:9] glc
	s_waitcnt vmcnt(0) lgkmcnt(0)
	buffer_wbinvl1_vol
	v_cmp_eq_u32_e32 vcc, 0, v1
	s_and_b64 s[74:75], vcc, exec
	s_or_b64 s[72:73], s[72:73], s[74:75]
	s_mov_b64 s[76:77], -1
	s_or_b64 s[62:63], s[62:63], exec
	s_and_saveexec_b64 s[74:75], s[72:73]
	s_cbranch_execz .LBB0_44
.LBB0_48:                               ;   in Loop: Header=BB0_45 Depth=2
	s_sleep 1
	s_trap 2
	ds_read_b64 v[8:9], v0
	s_waitcnt lgkmcnt(0)
	s_andn2_b64 s[62:63], s[62:63], exec
	v_cmp_ge_u64_e32 vcc, v[8:9], v[44:45]
	s_orn2_b64 s[76:77], vcc, exec
	s_branch .LBB0_44
.LBB0_49:                               ;   in Loop: Header=BB0_21 Depth=1
	s_or_b64 exec, exec, s[58:59]
	s_and_saveexec_b64 s[58:59], s[60:61]
	s_xor_b64 s[58:59], exec, s[58:59]
	s_cbranch_execz .LBB0_51
; %bb.50:                               ;   in Loop: Header=BB0_21 Depth=1
	v_mov_b32_e32 v1, 1
	ds_write_b32 v0, v1
	s_trap 2
.LBB0_51:                               ;   in Loop: Header=BB0_21 Depth=1
	s_or_b64 exec, exec, s[56:57]
	;;#ASMSTART
	s_wakeup
	;;#ASMEND
.LBB0_52:                               ;   in Loop: Header=BB0_21 Depth=1
	s_or_b64 exec, exec, s[46:47]
.LBB0_53:                               ;   in Loop: Header=BB0_21 Depth=1
	s_andn2_saveexec_b64 s[18:19], s[18:19]
	s_cbranch_execz .LBB0_55
; %bb.54:                               ;   in Loop: Header=BB0_21 Depth=1
	s_waitcnt vmcnt(0) lgkmcnt(0)
	buffer_wbinvl1_vol
	s_barrier
.LBB0_55:                               ;   in Loop: Header=BB0_21 Depth=1
	s_or_b64 exec, exec, s[18:19]
.LBB0_56:                               ;   in Loop: Header=BB0_21 Depth=1
	s_or_b64 exec, exec, s[16:17]
	buffer_load_dword v1, off, s[0:3], s32 offset:112 ; 4-byte Folded Reload
	v_and_b32_e32 v8, 7, v21
	v_add_u32_e32 v18, 1, v21
	s_waitcnt vmcnt(0)
	v_sub_u32_e32 v62, v0, v1
	v_cmp_lt_i32_e64 s[16:17], 0, v62
	v_mov_b32_e32 v0, v4
	s_and_saveexec_b64 s[18:19], s[16:17]
	s_cbranch_execz .LBB0_64
; %bb.57:                               ;   in Loop: Header=BB0_21 Depth=1
	buffer_load_dword v9, off, s[0:3], s32 offset:60 ; 4-byte Folded Reload
	s_waitcnt lgkmcnt(0)
	v_ashrrev_i32_e32 v1, 31, v17
	v_mad_u64_u32 v[11:12], s[46:47], v3, v17, v[60:61]
	v_mul_lo_u32 v10, v3, v1
	v_mul_lo_u32 v0, v8, s92
	s_mov_b64 s[46:47], 0
	v_ashrrev_i32_e32 v1, 31, v0
	v_lshlrev_b64 v[0:1], 4, v[0:1]
	s_waitcnt vmcnt(0)
	v_mul_lo_u32 v9, v9, v17
	v_mul_lo_u32 v17, v3, v17
	v_add3_u32 v12, v9, v12, v10
	buffer_load_dword v10, off, s[0:3], s32 offset:180 ; 4-byte Folded Reload
	v_add_lshl_u32 v9, v60, v17, 3
	s_waitcnt vmcnt(0)
	v_add_co_u32_e32 v32, vcc, v10, v0
	buffer_load_dword v0, off, s[0:3], s32 offset:184 ; 4-byte Folded Reload
	v_mov_b32_e32 v10, v62
	s_waitcnt vmcnt(0)
	v_addc_co_u32_e32 v33, vcc, v0, v1, vcc
	v_mov_b32_e32 v0, v4
	s_branch .LBB0_59
.LBB0_58:                               ;   in Loop: Header=BB0_59 Depth=2
	s_or_b64 exec, exec, s[56:57]
	s_waitcnt vmcnt(0)
	v_alignbit_b32 v1, v26, v17, v9
	v_alignbit_b32 v19, v25, v26, v9
	v_lshrrev_b32_e32 v25, 16, v1
	v_lshrrev_b32_e32 v17, 8, v1
	v_mul_lo_u32 v20, v27, v1
	v_lshrrev_b32_e32 v1, 24, v1
	v_mul_lo_u32 v25, v57, v25
	v_mul_lo_u32 v17, v46, v17
	v_lshrrev_b32_e32 v26, 8, v19
	v_mul_lo_u32 v1, v56, v1
	v_mul_lo_u32 v30, v27, v19
	v_lshrrev_b32_e32 v31, 24, v19
	v_lshrrev_b32_e32 v19, 16, v19
	v_mul_lo_u32 v19, v57, v19
	v_mul_lo_u32 v26, v46, v26
	v_mul_lo_u32 v31, v56, v31
	v_perm_b32 v20, v25, v20, s94
	v_and_b32_e32 v17, 0xff00, v17
	v_and_or_b32 v1, v1, s95, v20
	v_or3_b32 v17, v1, v17, 0
	v_perm_b32 v1, v19, v30, s94
	v_add_co_u32_e32 v11, vcc, v11, v7
	v_and_b32_e32 v26, 0xff00, v26
	v_and_or_b32 v1, v31, s95, v1
	v_sub_u32_e32 v10, v10, v7
	v_addc_co_u32_e32 v12, vcc, 0, v12, vcc
	v_or3_b32 v19, v1, v26, 0
	v_mov_b32_e32 v20, v18
	v_cmp_gt_i32_e32 vcc, 1, v10
	global_store_dwordx4 v[32:33], v[17:20], off
	s_or_b64 s[46:47], vcc, s[46:47]
	v_add_co_u32_e32 v32, vcc, v32, v5
	v_add_u32_e32 v0, v0, v29
	v_add_u32_e32 v9, v9, v28
	v_addc_co_u32_e32 v33, vcc, v33, v6, vcc
	s_andn2_b64 exec, exec, s[46:47]
	s_cbranch_execz .LBB0_63
.LBB0_59:                               ;   Parent Loop BB0_21 Depth=1
                                        ; =>  This Inner Loop Header: Depth=2
	v_and_b32_e32 v19, -4, v11
	v_mov_b32_e32 v20, v12
	global_load_dword v17, v[19:20], off glc slc
	v_min_u32_e32 v1, 8, v10
	v_and_b32_e32 v25, 3, v11
	v_add_u32_e32 v1, v25, v1
	v_cmp_lt_u32_e32 vcc, 4, v1
	v_mov_b32_e32 v25, 0
	v_mov_b32_e32 v26, 0
	s_and_saveexec_b64 s[56:57], vcc
	s_cbranch_execz .LBB0_61
; %bb.60:                               ;   in Loop: Header=BB0_59 Depth=2
	global_load_dword v26, v[19:20], off offset:4 glc slc
.LBB0_61:                               ;   in Loop: Header=BB0_59 Depth=2
	s_or_b64 exec, exec, s[56:57]
	v_cmp_lt_u64_e32 vcc, 8, v[1:2]
	s_and_saveexec_b64 s[56:57], vcc
	s_cbranch_execz .LBB0_58
; %bb.62:                               ;   in Loop: Header=BB0_59 Depth=2
	global_load_dword v25, v[19:20], off offset:8 glc slc
	s_branch .LBB0_58
.LBB0_63:                               ;   in Loop: Header=BB0_21 Depth=1
	s_or_b64 exec, exec, s[46:47]
	buffer_load_dword v32, off, s[0:3], s32 offset:96 ; 4-byte Folded Reload
	buffer_load_dword v33, off, s[0:3], s32 offset:100 ; 4-byte Folded Reload
	;; [unrolled: 1-line block ×4, first 2 shown]
.LBB0_64:                               ;   in Loop: Header=BB0_21 Depth=1
	s_or_b64 exec, exec, s[18:19]
	v_and_b32_e32 v1, 0x7ffffff8, v21
	v_cmp_eq_u64_e32 vcc, s[44:45], v[1:2]
	v_cmp_gt_i32_e64 s[18:19], s92, v0
	s_and_b64 s[18:19], vcc, s[18:19]
	s_and_saveexec_b64 s[46:47], s[18:19]
	s_cbranch_execz .LBB0_67
; %bb.65:                               ;   in Loop: Header=BB0_21 Depth=1
	v_mul_lo_u32 v8, v8, s92
	v_ashrrev_i32_e32 v1, 31, v0
	v_lshlrev_b64 v[10:11], 4, v[0:1]
	s_waitcnt lgkmcnt(0)
	v_mov_b32_e32 v17, v2
	v_ashrrev_i32_e32 v9, 31, v8
	v_lshlrev_b64 v[8:9], 4, v[8:9]
	s_mov_b64 s[56:57], 0
	v_add_co_u32_e32 v1, vcc, v10, v8
	v_addc_co_u32_e32 v8, vcc, v11, v9, vcc
	v_add_co_u32_e32 v11, vcc, v38, v1
	v_addc_co_u32_e32 v12, vcc, v39, v8, vcc
.LBB0_66:                               ;   Parent Loop BB0_21 Depth=1
                                        ; =>  This Inner Loop Header: Depth=2
	v_mov_b32_e32 v19, v17
	v_mov_b32_e32 v20, v18
	v_add_u32_e32 v0, v0, v29
	global_store_dwordx4 v[11:12], v[17:20], off
	v_add_co_u32_e32 v11, vcc, v11, v5
	v_cmp_le_i32_e64 s[18:19], s92, v0
	s_or_b64 s[56:57], s[18:19], s[56:57]
	v_addc_co_u32_e32 v12, vcc, v12, v6, vcc
	s_andn2_b64 exec, exec, s[56:57]
	s_cbranch_execnz .LBB0_66
.LBB0_67:                               ;   in Loop: Header=BB0_21 Depth=1
	s_or_b64 exec, exec, s[46:47]
	buffer_store_dword v60, off, s[0:3], s32 offset:88 ; 4-byte Folded Spill
	s_nop 0
	buffer_store_dword v61, off, s[0:3], s32 offset:92 ; 4-byte Folded Spill
	buffer_load_dword v0, off, s[0:3], s32 offset:116 ; 4-byte Folded Reload
	buffer_load_dword v1, off, s[0:3], s32 offset:120 ; 4-byte Folded Reload
	v_add_co_u32_e64 v60, s[18:19], 1, v21
	v_addc_co_u32_e64 v61, s[18:19], 0, v22, s[18:19]
	s_waitcnt vmcnt(0)
	v_add_co_u32_e32 v12, vcc, v58, v0
	v_addc_co_u32_e32 v30, vcc, v59, v1, vcc
	s_andn2_b64 vcc, exec, s[42:43]
	s_cbranch_vccnz .LBB0_150
; %bb.68:                               ;   in Loop: Header=BB0_21 Depth=1
	buffer_load_dword v0, off, s[0:3], s32 offset:164 ; 4-byte Folded Reload
	v_add_u16_e32 v31, 1, v21
	s_mov_b32 s35, 2
	buffer_store_dword v12, off, s[0:3], s32 offset:140 ; 4-byte Folded Spill
	buffer_store_dword v30, off, s[0:3], s32 offset:144 ; 4-byte Folded Spill
	s_waitcnt vmcnt(0)
	v_add_co_u32_e32 v32, vcc, v0, v12
	buffer_load_dword v0, off, s[0:3], s32 offset:168 ; 4-byte Folded Reload
	s_waitcnt vmcnt(0)
	v_addc_co_u32_e32 v33, vcc, v0, v30, vcc
	s_branch .LBB0_70
.LBB0_69:                               ;   in Loop: Header=BB0_70 Depth=2
	s_or_b64 exec, exec, s[46:47]
	v_add_co_u32_e32 v36, vcc, 1, v36
	v_addc_co_u32_e32 v37, vcc, 0, v37, vcc
	s_add_i32 s35, s35, 1
	v_add_co_u32_e32 v60, vcc, 1, v60
	v_addc_co_u32_e32 v61, vcc, 0, v61, vcc
	s_cmp_eq_u32 s35, s20
	v_add_u16_e32 v31, 1, v31
	s_cbranch_scc1 .LBB0_149
.LBB0_70:                               ;   Parent Loop BB0_21 Depth=1
                                        ; =>  This Loop Header: Depth=2
                                        ;       Child Loop BB0_75 Depth 3
                                        ;       Child Loop BB0_94 Depth 3
	;; [unrolled: 1-line block ×3, first 2 shown]
                                        ;         Child Loop BB0_118 Depth 4
                                        ;       Child Loop BB0_132 Depth 3
                                        ;       Child Loop BB0_141 Depth 3
	s_sub_i32 s26, s20, s35
	s_lshl_b64 s[18:19], s[26:27], 2
	v_mov_b32_e32 v1, s19
	s_waitcnt vmcnt(0) lgkmcnt(0)
	v_add_co_u32_e32 v0, vcc, s18, v23
	v_addc_co_u32_e32 v1, vcc, v24, v1, vcc
	flat_load_dword v0, v[0:1]
	s_and_saveexec_b64 s[46:47], s[6:7]
	s_cbranch_execz .LBB0_86
; %bb.71:                               ;   in Loop: Header=BB0_70 Depth=2
	v_add_co_u32_e32 v11, vcc, 1, v15
	v_addc_co_u32_e32 v12, vcc, 0, v16, vcc
	s_waitcnt lgkmcnt(0)
	v_add_co_u32_e32 v8, vcc, 8, v54
	v_addc_co_u32_e32 v9, vcc, 0, v55, vcc
	v_cmp_lt_u64_e32 vcc, v[8:9], v[11:12]
	s_and_saveexec_b64 s[56:57], vcc
	s_cbranch_execz .LBB0_83
; %bb.72:                               ;   in Loop: Header=BB0_70 Depth=2
	s_mov_b32 s26, 0
	v_cmp_eq_u32_e32 vcc, 0, v47
	s_mov_b64 s[58:59], 0
                                        ; implicit-def: $sgpr60_sgpr61
                                        ; implicit-def: $sgpr62_sgpr63
                                        ; implicit-def: $sgpr72_sgpr73
	s_branch .LBB0_75
.LBB0_73:                               ;   in Loop: Header=BB0_75 Depth=3
	s_or_b64 exec, exec, s[90:91]
	s_andn2_b64 s[18:19], s[72:73], exec
	s_and_b64 s[72:73], s[78:79], exec
	s_or_b64 s[72:73], s[18:19], s[72:73]
	s_andn2_b64 s[18:19], s[62:63], exec
	s_and_b64 s[62:63], s[76:77], exec
	s_or_b64 s[62:63], s[18:19], s[62:63]
.LBB0_74:                               ;   in Loop: Header=BB0_75 Depth=3
	s_or_b64 exec, exec, s[74:75]
	s_and_b64 s[18:19], exec, s[62:63]
	s_or_b64 s[58:59], s[18:19], s[58:59]
	s_andn2_b64 s[18:19], s[60:61], exec
	s_and_b64 s[60:61], s[72:73], exec
	s_or_b64 s[60:61], s[18:19], s[60:61]
	s_andn2_b64 exec, exec, s[58:59]
	s_cbranch_execz .LBB0_80
.LBB0_75:                               ;   Parent Loop BB0_21 Depth=1
                                        ;     Parent Loop BB0_70 Depth=2
                                        ; =>    This Inner Loop Header: Depth=3
	s_sleep 1
	s_waitcnt vmcnt(0) lgkmcnt(0)
	flat_load_dwordx2 v[54:55], v[52:53] glc
	v_mov_b32_e32 v47, 1
	s_or_b64 s[72:73], s[72:73], exec
	s_or_b64 s[62:63], s[62:63], exec
                                        ; implicit-def: $vgpr1
	s_and_saveexec_b64 s[74:75], vcc
	s_cbranch_execz .LBB0_74
; %bb.76:                               ;   in Loop: Header=BB0_75 Depth=3
	s_add_i32 s26, s26, 1
	s_cmpk_lg_i32 s26, 0x2710
	s_cselect_b64 s[88:89], -1, 0
	s_cmpk_eq_i32 s26, 0x2710
	s_mov_b64 s[76:77], -1
	s_mov_b64 s[78:79], -1
                                        ; implicit-def: $vgpr1
	s_cbranch_scc1 .LBB0_78
; %bb.77:                               ;   in Loop: Header=BB0_75 Depth=3
	v_mov_b32_e32 v47, 1
	s_and_saveexec_b64 s[90:91], s[88:89]
	s_cbranch_execz .LBB0_73
	s_branch .LBB0_79
.LBB0_78:                               ;   in Loop: Header=BB0_75 Depth=3
	s_trap 2
	s_waitcnt vmcnt(0)
	ds_read_b64 v[8:9], v0
	s_andn2_b64 s[88:89], s[88:89], exec
	s_mov_b32 s26, 0
	s_mov_b64 s[78:79], 0
	s_waitcnt lgkmcnt(0)
	flat_load_dword v1, v[8:9] glc
	s_waitcnt vmcnt(0) lgkmcnt(0)
	buffer_wbinvl1_vol
	v_cmp_eq_u32_e64 s[18:19], 0, v1
	s_and_b64 s[18:19], s[18:19], exec
	s_or_b64 s[88:89], s[88:89], s[18:19]
	v_mov_b32_e32 v47, 1
	s_and_saveexec_b64 s[90:91], s[88:89]
	s_cbranch_execz .LBB0_73
.LBB0_79:                               ;   in Loop: Header=BB0_75 Depth=3
	s_waitcnt vmcnt(0) lgkmcnt(0)
	v_add_co_u32_e64 v8, s[18:19], 8, v54
	v_addc_co_u32_e64 v9, s[18:19], 0, v55, s[18:19]
	v_cmp_ge_u64_e64 s[18:19], v[8:9], v[11:12]
	v_mov_b32_e32 v47, 0
	s_or_b64 s[78:79], s[78:79], exec
	s_orn2_b64 s[76:77], s[18:19], exec
	s_branch .LBB0_73
.LBB0_80:                               ;   in Loop: Header=BB0_70 Depth=2
	s_or_b64 exec, exec, s[58:59]
	s_xor_b64 s[18:19], s[60:61], -1
	s_and_saveexec_b64 s[58:59], s[18:19]
	s_xor_b64 s[18:19], exec, s[58:59]
	s_cbranch_execz .LBB0_82
; %bb.81:                               ;   in Loop: Header=BB0_70 Depth=2
	v_mov_b32_e32 v47, 1
	s_waitcnt vmcnt(0) lgkmcnt(0)
	ds_write_b32 v0, v1
	s_trap 2
.LBB0_82:                               ;   in Loop: Header=BB0_70 Depth=2
	s_or_b64 exec, exec, s[18:19]
.LBB0_83:                               ;   in Loop: Header=BB0_70 Depth=2
	s_or_b64 exec, exec, s[56:57]
	s_and_saveexec_b64 s[18:19], s[8:9]
	s_cbranch_execz .LBB0_85
; %bb.84:                               ;   in Loop: Header=BB0_70 Depth=2
	v_and_b32_e32 v1, 0x7ffffff8, v15
	v_cmp_eq_u64_e32 vcc, s[44:45], v[1:2]
	buffer_load_dword v1, off, s[0:3], s32 offset:80 ; 4-byte Folded Reload
	v_and_b32_e32 v8, 7, v15
	v_mad_u64_u32 v[8:9], s[56:57], v8, 24, v[13:14]
	v_mov_b32_e32 v10, s21
	s_waitcnt vmcnt(0)
	v_cndmask_b32_e32 v15, v1, v10, vcc
	v_ashrrev_i32_e32 v16, 31, v15
	flat_store_dwordx2 v[8:9], v[15:16] offset:8
	s_waitcnt vmcnt(0)
.LBB0_85:                               ;   in Loop: Header=BB0_70 Depth=2
	s_or_b64 exec, exec, s[18:19]
	v_mov_b32_e32 v16, v12
	v_mov_b32_e32 v15, v11
.LBB0_86:                               ;   in Loop: Header=BB0_70 Depth=2
	s_or_b64 exec, exec, s[46:47]
	s_and_saveexec_b64 s[18:19], s[10:11]
	s_cbranch_execz .LBB0_105
; %bb.87:                               ;   in Loop: Header=BB0_70 Depth=2
	s_and_saveexec_b64 s[46:47], s[40:41]
	s_xor_b64 s[46:47], exec, s[46:47]
	s_cbranch_execz .LBB0_102
; %bb.88:                               ;   in Loop: Header=BB0_70 Depth=2
	s_and_saveexec_b64 s[56:57], s[12:13]
	s_cbranch_execz .LBB0_101
; %bb.89:                               ;   in Loop: Header=BB0_70 Depth=2
	s_mov_b64 s[60:61], exec
	v_mbcnt_lo_u32_b32 v1, s60, 0
	v_mbcnt_hi_u32_b32 v1, s61, v1
	v_cmp_eq_u32_e32 vcc, 0, v1
	s_waitcnt vmcnt(0) lgkmcnt(0)
	buffer_wbinvl1_vol
	s_and_saveexec_b64 s[58:59], vcc
	s_cbranch_execz .LBB0_91
; %bb.90:                               ;   in Loop: Header=BB0_70 Depth=2
	s_bcnt1_i32_b64 s26, s[60:61]
	v_mov_b32_e32 v1, s26
	ds_add_u64 v0, v[1:2]
	s_trap 2
.LBB0_91:                               ;   in Loop: Header=BB0_70 Depth=2
	s_or_b64 exec, exec, s[58:59]
	s_trap 2
	ds_read_b64 v[8:9], v0
	s_waitcnt lgkmcnt(0)
	buffer_load_dword v1, off, s[0:3], s32 offset:84 ; 4-byte Folded Reload
	s_waitcnt vmcnt(0)
	v_add_co_u32_e32 v44, vcc, v44, v1
	v_addc_co_u32_e32 v45, vcc, 0, v45, vcc
	v_cmp_lt_u64_e32 vcc, v[8:9], v[44:45]
	s_and_saveexec_b64 s[58:59], vcc
	s_cbranch_execz .LBB0_100
; %bb.92:                               ;   in Loop: Header=BB0_70 Depth=2
	s_mov_b32 s26, 0
	s_mov_b64 s[60:61], 0
                                        ; implicit-def: $sgpr62_sgpr63
                                        ; implicit-def: $sgpr72_sgpr73
	s_branch .LBB0_94
.LBB0_93:                               ;   in Loop: Header=BB0_94 Depth=3
	s_or_b64 exec, exec, s[76:77]
	s_and_b64 s[74:75], exec, s[78:79]
	s_or_b64 s[60:61], s[74:75], s[60:61]
	s_andn2_b64 s[62:63], s[62:63], exec
	s_and_b64 s[74:75], s[72:73], exec
	s_or_b64 s[62:63], s[62:63], s[74:75]
	s_andn2_b64 exec, exec, s[60:61]
	s_cbranch_execz .LBB0_98
.LBB0_94:                               ;   Parent Loop BB0_21 Depth=1
                                        ;     Parent Loop BB0_70 Depth=2
                                        ; =>    This Inner Loop Header: Depth=3
	s_add_i32 s26, s26, 1
	s_cmpk_lg_i32 s26, 0x2710
	s_cselect_b64 s[74:75], -1, 0
	s_and_b64 vcc, exec, s[74:75]
	s_cbranch_vccz .LBB0_96
; %bb.95:                               ;   in Loop: Header=BB0_94 Depth=3
	s_mov_b64 s[78:79], -1
	s_or_b64 s[72:73], s[72:73], exec
	s_and_saveexec_b64 s[76:77], s[74:75]
	s_cbranch_execz .LBB0_93
	s_branch .LBB0_97
.LBB0_96:                               ;   in Loop: Header=BB0_94 Depth=3
	s_trap 2
	ds_read_b64 v[8:9], v0
	s_andn2_b64 s[74:75], s[74:75], exec
	s_mov_b32 s26, 0
	s_waitcnt lgkmcnt(0)
	flat_load_dword v1, v[8:9] glc
	s_waitcnt vmcnt(0) lgkmcnt(0)
	buffer_wbinvl1_vol
	v_cmp_eq_u32_e32 vcc, 0, v1
	s_and_b64 s[76:77], vcc, exec
	s_or_b64 s[74:75], s[74:75], s[76:77]
	s_mov_b64 s[78:79], -1
	s_or_b64 s[72:73], s[72:73], exec
	s_and_saveexec_b64 s[76:77], s[74:75]
	s_cbranch_execz .LBB0_93
.LBB0_97:                               ;   in Loop: Header=BB0_94 Depth=3
	s_sleep 1
	s_trap 2
	ds_read_b64 v[8:9], v0
	s_waitcnt lgkmcnt(0)
	s_andn2_b64 s[72:73], s[72:73], exec
	v_cmp_ge_u64_e32 vcc, v[8:9], v[44:45]
	s_orn2_b64 s[78:79], vcc, exec
	s_branch .LBB0_93
.LBB0_98:                               ;   in Loop: Header=BB0_70 Depth=2
	s_or_b64 exec, exec, s[60:61]
	s_and_saveexec_b64 s[60:61], s[62:63]
	s_xor_b64 s[60:61], exec, s[60:61]
	s_cbranch_execz .LBB0_100
; %bb.99:                               ;   in Loop: Header=BB0_70 Depth=2
	v_mov_b32_e32 v1, 1
	ds_write_b32 v0, v1
	s_trap 2
.LBB0_100:                              ;   in Loop: Header=BB0_70 Depth=2
	s_or_b64 exec, exec, s[58:59]
	;;#ASMSTART
	s_wakeup
	;;#ASMEND
.LBB0_101:                              ;   in Loop: Header=BB0_70 Depth=2
	s_or_b64 exec, exec, s[56:57]
.LBB0_102:                              ;   in Loop: Header=BB0_70 Depth=2
	s_andn2_saveexec_b64 s[46:47], s[46:47]
	s_cbranch_execz .LBB0_104
; %bb.103:                              ;   in Loop: Header=BB0_70 Depth=2
	s_waitcnt vmcnt(0) lgkmcnt(0)
	buffer_wbinvl1_vol
	s_barrier
.LBB0_104:                              ;   in Loop: Header=BB0_70 Depth=2
	s_or_b64 exec, exec, s[46:47]
.LBB0_105:                              ;   in Loop: Header=BB0_70 Depth=2
	s_or_b64 exec, exec, s[18:19]
	v_add_u32_e32 v18, 1, v60
	v_mov_b32_e32 v42, v4
	s_and_saveexec_b64 s[46:47], s[16:17]
	s_cbranch_execz .LBB0_124
; %bb.106:                              ;   in Loop: Header=BB0_70 Depth=2
	buffer_load_dword v8, off, s[0:3], s32 offset:60 ; 4-byte Folded Reload
	buffer_load_dword v9, off, s[0:3], s32 offset:72 ; 4-byte Folded Reload
	;; [unrolled: 1-line block ×3, first 2 shown]
	s_waitcnt vmcnt(0) lgkmcnt(0)
	v_ashrrev_i32_e32 v1, 31, v0
	v_mad_u64_u32 v[11:12], s[18:19], v3, v0, v[32:33]
	v_mul_lo_u32 v1, v3, v1
	v_add_u32_e32 v30, 1, v36
	s_mov_b64 s[56:57], 0
	v_mov_b32_e32 v42, v4
	v_mul_lo_u32 v8, v8, v0
	v_and_b32_e32 v0, 7, v36
	v_mul_lo_u32 v0, v0, s92
	v_add3_u32 v12, v8, v12, v1
	v_and_b32_e32 v8, 7, v60
	v_mul_lo_u32 v8, v8, s92
	v_ashrrev_i32_e32 v1, 31, v0
	v_lshlrev_b64 v[0:1], 4, v[0:1]
	v_add_co_u32_e32 v40, vcc, v9, v0
	v_ashrrev_i32_e32 v9, 31, v8
	v_addc_co_u32_e32 v41, vcc, v10, v1, vcc
	v_lshlrev_b64 v[0:1], 4, v[8:9]
	v_mov_b32_e32 v8, v62
	v_add_co_u32_e32 v50, vcc, v38, v0
	v_addc_co_u32_e32 v51, vcc, v39, v1, vcc
	s_branch .LBB0_110
.LBB0_107:                              ;   in Loop: Header=BB0_110 Depth=3
	s_or_b64 exec, exec, s[18:19]
.LBB0_108:                              ;   in Loop: Header=BB0_110 Depth=3
	s_or_b64 exec, exec, s[60:61]
.LBB0_109:                              ;   in Loop: Header=BB0_110 Depth=3
	s_or_b64 exec, exec, s[58:59]
	v_add_co_u32_e32 v25, vcc, v11, v7
	v_lshlrev_b32_e32 v11, 3, v11
	v_addc_co_u32_e32 v26, vcc, 0, v12, vcc
	s_waitcnt vmcnt(1)
	v_alignbit_b32 v12, v10, v17, v11
	v_alignbit_b32 v9, v9, v10, v11
	v_lshrrev_b32_e32 v10, 8, v12
	v_lshrrev_b32_e32 v11, 24, v12
	v_mul_lo_u32 v10, v46, v10
	v_mul_lo_u32 v11, v56, v11
	;; [unrolled: 1-line block ×3, first 2 shown]
	v_lshrrev_b32_e32 v12, 16, v12
	v_mul_lo_u32 v12, v57, v12
	v_and_or_b32 v10, v10, s93, v11
	v_lshrrev_b32_e32 v11, 8, v9
	s_waitcnt vmcnt(0)
	v_lshrrev_b32_e32 v20, 24, v9
	v_mul_lo_u32 v22, v27, v9
	v_lshrrev_b32_e32 v9, 16, v9
	v_mul_lo_u32 v9, v57, v9
	v_mul_lo_u32 v11, v46, v11
	;; [unrolled: 1-line block ×3, first 2 shown]
	v_and_or_b32 v12, v17, s30, v12
	v_and_b32_e32 v17, 0xff00ff00, v19
	v_add_u32_e32 v10, v10, v17
	v_and_b32_e32 v17, 0xff00ff, v21
	v_and_or_b32 v9, v22, s30, v9
	v_and_or_b32 v11, v11, s93, v20
	v_and_b32_e32 v20, 0xff00ff, v19
	v_add_u32_e32 v9, v9, v17
	v_and_b32_e32 v17, 0xff00ff00, v21
	v_add_co_u32_e32 v0, vcc, v50, v0
	v_add_u32_e32 v12, v12, v20
	v_add_u32_e32 v11, v11, v17
	v_addc_co_u32_e32 v1, vcc, v51, v1, vcc
	v_sub_u32_e32 v8, v8, v7
	v_perm_b32 v17, v10, v12, s31
	v_perm_b32 v19, v11, v9, s31
	v_cmp_gt_i32_e32 vcc, 1, v8
	v_mov_b32_e32 v11, v25
	v_mov_b32_e32 v20, v18
	v_add_u32_e32 v42, v42, v29
	s_or_b64 s[56:57], vcc, s[56:57]
	v_mov_b32_e32 v12, v26
	global_store_dwordx4 v[0:1], v[17:20], off
	s_andn2_b64 exec, exec, s[56:57]
	s_cbranch_execz .LBB0_136
.LBB0_110:                              ;   Parent Loop BB0_21 Depth=1
                                        ;     Parent Loop BB0_70 Depth=2
                                        ; =>    This Loop Header: Depth=3
                                        ;         Child Loop BB0_118 Depth 4
	v_and_b32_e32 v19, -4, v11
	v_mov_b32_e32 v20, v12
	global_load_dword v17, v[19:20], off glc slc
	v_min_u32_e32 v0, 8, v8
	v_and_b32_e32 v1, 3, v11
	v_add_u32_e32 v1, v1, v0
	v_cmp_lt_u32_e32 vcc, 4, v1
	v_mov_b32_e32 v9, 0
	v_mov_b32_e32 v10, 0
	s_and_saveexec_b64 s[18:19], vcc
	s_cbranch_execz .LBB0_112
; %bb.111:                              ;   in Loop: Header=BB0_110 Depth=3
	global_load_dword v10, v[19:20], off offset:4 glc slc
.LBB0_112:                              ;   in Loop: Header=BB0_110 Depth=3
	s_or_b64 exec, exec, s[18:19]
	v_cmp_lt_u64_e32 vcc, 8, v[1:2]
	s_and_saveexec_b64 s[18:19], vcc
	s_cbranch_execz .LBB0_114
; %bb.113:                              ;   in Loop: Header=BB0_110 Depth=3
	global_load_dword v9, v[19:20], off offset:8 glc slc
.LBB0_114:                              ;   in Loop: Header=BB0_110 Depth=3
	s_or_b64 exec, exec, s[18:19]
	v_mov_b32_e32 v43, v2
	v_lshlrev_b64 v[0:1], 4, v[42:43]
	v_add_co_u32_e32 v25, vcc, v40, v0
	v_addc_co_u32_e32 v26, vcc, v41, v1, vcc
	global_load_dwordx4 v[19:22], v[25:26], off glc slc
	v_cmp_eq_u32_e32 vcc, 0, v47
	v_mov_b32_e32 v47, 1
	s_and_saveexec_b64 s[58:59], vcc
	s_cbranch_execz .LBB0_109
; %bb.115:                              ;   in Loop: Header=BB0_110 Depth=3
	s_waitcnt vmcnt(0)
	v_cmp_ne_u32_e32 vcc, v30, v20
	v_cmp_ne_u32_e64 s[18:19], v30, v22
	s_or_b64 s[18:19], vcc, s[18:19]
	v_mov_b32_e32 v47, 0
	s_and_saveexec_b64 s[60:61], s[18:19]
	s_cbranch_execz .LBB0_108
; %bb.116:                              ;   in Loop: Header=BB0_110 Depth=3
	s_mov_b32 s26, 1
	s_mov_b64 s[72:73], 0
                                        ; implicit-def: $sgpr62_sgpr63
                                        ; implicit-def: $sgpr74_sgpr75
	s_branch .LBB0_118
.LBB0_117:                              ;   in Loop: Header=BB0_118 Depth=4
	s_or_b64 exec, exec, s[78:79]
	s_and_b64 s[18:19], exec, s[18:19]
	s_or_b64 s[72:73], s[18:19], s[72:73]
	s_andn2_b64 s[18:19], s[62:63], exec
	s_and_b64 s[62:63], s[74:75], exec
	s_or_b64 s[62:63], s[18:19], s[62:63]
	s_andn2_b64 exec, exec, s[72:73]
	s_cbranch_execz .LBB0_122
.LBB0_118:                              ;   Parent Loop BB0_21 Depth=1
                                        ;     Parent Loop BB0_70 Depth=2
                                        ;       Parent Loop BB0_110 Depth=3
                                        ; =>      This Inner Loop Header: Depth=4
	global_load_dwordx4 v[19:22], v[25:26], off glc slc
	s_add_i32 s26, s26, 1
	s_mov_b64 s[18:19], -1
	s_cmpk_lg_i32 s26, 0x2710
	s_mov_b64 s[76:77], -1
                                        ; implicit-def: $vgpr43
	s_cbranch_scc0 .LBB0_120
; %bb.119:                              ;   in Loop: Header=BB0_118 Depth=4
	s_or_b64 s[74:75], s[74:75], exec
	s_and_saveexec_b64 s[78:79], s[76:77]
	s_cbranch_execz .LBB0_117
	s_branch .LBB0_121
.LBB0_120:                              ;   in Loop: Header=BB0_118 Depth=4
	s_trap 2
	ds_read_b64 v[34:35], v0
	s_mov_b32 s26, 0
	s_waitcnt vmcnt(0) lgkmcnt(0)
	flat_load_dword v43, v[34:35] glc
	s_waitcnt vmcnt(0) lgkmcnt(0)
	buffer_wbinvl1_vol
	v_cmp_eq_u32_e32 vcc, 0, v43
	s_orn2_b64 s[76:77], vcc, exec
	s_or_b64 s[74:75], s[74:75], exec
	s_and_saveexec_b64 s[78:79], s[76:77]
	s_cbranch_execz .LBB0_117
.LBB0_121:                              ;   in Loop: Header=BB0_118 Depth=4
	s_waitcnt vmcnt(0)
	v_cmp_eq_u32_e32 vcc, v30, v20
	v_cmp_eq_u32_e64 s[18:19], v30, v22
	s_and_b64 s[18:19], vcc, s[18:19]
	s_andn2_b64 s[74:75], s[74:75], exec
	s_orn2_b64 s[18:19], s[18:19], exec
	s_branch .LBB0_117
.LBB0_122:                              ;   in Loop: Header=BB0_110 Depth=3
	s_or_b64 exec, exec, s[72:73]
	v_mov_b32_e32 v47, 0
	s_and_saveexec_b64 s[18:19], s[62:63]
	s_xor_b64 s[18:19], exec, s[18:19]
	s_cbranch_execz .LBB0_107
; %bb.123:                              ;   in Loop: Header=BB0_110 Depth=3
	v_mov_b32_e32 v47, 1
	ds_write_b32 v0, v43
	s_trap 2
	s_branch .LBB0_107
.LBB0_124:                              ;   in Loop: Header=BB0_70 Depth=2
	s_or_b64 exec, exec, s[46:47]
	s_and_saveexec_b64 s[18:19], s[10:11]
	s_cbranch_execz .LBB0_137
.LBB0_125:                              ;   in Loop: Header=BB0_70 Depth=2
	s_and_saveexec_b64 s[46:47], s[40:41]
	s_xor_b64 s[46:47], exec, s[46:47]
	s_cbranch_execz .LBB0_146
; %bb.126:                              ;   in Loop: Header=BB0_70 Depth=2
	s_and_saveexec_b64 s[56:57], s[12:13]
	s_cbranch_execz .LBB0_145
; %bb.127:                              ;   in Loop: Header=BB0_70 Depth=2
	s_mov_b64 s[60:61], exec
	s_waitcnt vmcnt(0) lgkmcnt(0)
	v_mbcnt_lo_u32_b32 v0, s60, 0
	v_mbcnt_hi_u32_b32 v0, s61, v0
	v_cmp_eq_u32_e32 vcc, 0, v0
	buffer_wbinvl1_vol
	s_and_saveexec_b64 s[58:59], vcc
	s_cbranch_execz .LBB0_129
; %bb.128:                              ;   in Loop: Header=BB0_70 Depth=2
	s_bcnt1_i32_b64 s26, s[60:61]
	v_mov_b32_e32 v1, s26
	ds_add_u64 v0, v[1:2]
	s_trap 2
.LBB0_129:                              ;   in Loop: Header=BB0_70 Depth=2
	s_or_b64 exec, exec, s[58:59]
	s_trap 2
	ds_read_b64 v[0:1], v0
	s_waitcnt lgkmcnt(0)
	buffer_load_dword v8, off, s[0:3], s32 offset:84 ; 4-byte Folded Reload
	s_waitcnt vmcnt(0)
	v_add_co_u32_e32 v44, vcc, v44, v8
	v_addc_co_u32_e32 v45, vcc, 0, v45, vcc
	v_cmp_lt_u64_e32 vcc, v[0:1], v[44:45]
	s_and_saveexec_b64 s[58:59], vcc
	s_cbranch_execz .LBB0_144
; %bb.130:                              ;   in Loop: Header=BB0_70 Depth=2
	s_mov_b32 s26, 0
	s_mov_b64 s[60:61], 0
                                        ; implicit-def: $sgpr62_sgpr63
                                        ; implicit-def: $sgpr72_sgpr73
	s_branch .LBB0_132
.LBB0_131:                              ;   in Loop: Header=BB0_132 Depth=3
	s_or_b64 exec, exec, s[76:77]
	s_and_b64 s[74:75], exec, s[78:79]
	s_or_b64 s[60:61], s[74:75], s[60:61]
	s_andn2_b64 s[62:63], s[62:63], exec
	s_and_b64 s[74:75], s[72:73], exec
	s_or_b64 s[62:63], s[62:63], s[74:75]
	s_andn2_b64 exec, exec, s[60:61]
	s_cbranch_execz .LBB0_142
.LBB0_132:                              ;   Parent Loop BB0_21 Depth=1
                                        ;     Parent Loop BB0_70 Depth=2
                                        ; =>    This Inner Loop Header: Depth=3
	s_add_i32 s26, s26, 1
	s_cmpk_lg_i32 s26, 0x2710
	s_cselect_b64 s[74:75], -1, 0
	s_and_b64 vcc, exec, s[74:75]
	s_cbranch_vccz .LBB0_134
; %bb.133:                              ;   in Loop: Header=BB0_132 Depth=3
	s_mov_b64 s[78:79], -1
	s_or_b64 s[72:73], s[72:73], exec
	s_and_saveexec_b64 s[76:77], s[74:75]
	s_cbranch_execz .LBB0_131
	s_branch .LBB0_135
.LBB0_134:                              ;   in Loop: Header=BB0_132 Depth=3
	s_trap 2
	ds_read_b64 v[0:1], v0
	s_andn2_b64 s[74:75], s[74:75], exec
	s_mov_b32 s26, 0
	s_waitcnt lgkmcnt(0)
	flat_load_dword v0, v[0:1] glc
	s_waitcnt vmcnt(0) lgkmcnt(0)
	buffer_wbinvl1_vol
	v_cmp_eq_u32_e32 vcc, 0, v0
	s_and_b64 s[76:77], vcc, exec
	s_or_b64 s[74:75], s[74:75], s[76:77]
	s_mov_b64 s[78:79], -1
	s_or_b64 s[72:73], s[72:73], exec
	s_and_saveexec_b64 s[76:77], s[74:75]
	s_cbranch_execz .LBB0_131
.LBB0_135:                              ;   in Loop: Header=BB0_132 Depth=3
	s_sleep 1
	s_trap 2
	ds_read_b64 v[0:1], v0
	s_waitcnt lgkmcnt(0)
	s_andn2_b64 s[72:73], s[72:73], exec
	v_cmp_ge_u64_e32 vcc, v[0:1], v[44:45]
	s_orn2_b64 s[78:79], vcc, exec
	s_branch .LBB0_131
.LBB0_136:                              ;   in Loop: Header=BB0_70 Depth=2
	s_or_b64 exec, exec, s[56:57]
	s_or_b64 exec, exec, s[46:47]
	s_and_saveexec_b64 s[18:19], s[10:11]
	s_cbranch_execnz .LBB0_125
.LBB0_137:                              ;   in Loop: Header=BB0_70 Depth=2
	s_or_b64 exec, exec, s[18:19]
	s_and_saveexec_b64 s[18:19], s[14:15]
	s_cbranch_execz .LBB0_139
.LBB0_138:                              ;   in Loop: Header=BB0_70 Depth=2
	s_waitcnt lgkmcnt(0)
	buffer_load_dword v0, off, s[0:3], s32 offset:64 ; 4-byte Folded Reload
	buffer_load_dword v1, off, s[0:3], s32 offset:68 ; 4-byte Folded Reload
	v_add_co_u32_e32 v48, vcc, 1, v48
	v_addc_co_u32_e32 v49, vcc, 0, v49, vcc
	s_waitcnt vmcnt(0)
	flat_store_dwordx2 v[0:1], v[48:49]
.LBB0_139:                              ;   in Loop: Header=BB0_70 Depth=2
	s_or_b64 exec, exec, s[18:19]
	v_and_b32_e32 v1, 0x7ffffff8, v60
	v_cmp_eq_u64_e32 vcc, s[44:45], v[1:2]
	v_cmp_gt_i32_e64 s[18:19], s92, v42
	s_and_b64 s[18:19], vcc, s[18:19]
	s_and_saveexec_b64 s[46:47], s[18:19]
	s_cbranch_execz .LBB0_69
; %bb.140:                              ;   in Loop: Header=BB0_70 Depth=2
	s_waitcnt vmcnt(0) lgkmcnt(0)
	v_and_b32_e32 v0, 7, v31
	v_mul_lo_u32 v0, s92, v0
	v_ashrrev_i32_e32 v43, 31, v42
	v_lshlrev_b64 v[8:9], 4, v[42:43]
	v_mov_b32_e32 v17, v2
	v_ashrrev_i32_e32 v1, 31, v0
	v_lshlrev_b64 v[0:1], 4, v[0:1]
	s_mov_b64 s[56:57], 0
	v_add_co_u32_e32 v0, vcc, v8, v0
	v_addc_co_u32_e32 v1, vcc, v9, v1, vcc
	v_add_co_u32_e32 v0, vcc, v38, v0
	v_addc_co_u32_e32 v1, vcc, v39, v1, vcc
.LBB0_141:                              ;   Parent Loop BB0_21 Depth=1
                                        ;     Parent Loop BB0_70 Depth=2
                                        ; =>    This Inner Loop Header: Depth=3
	v_mov_b32_e32 v19, v17
	v_mov_b32_e32 v20, v18
	v_add_u32_e32 v42, v42, v29
	global_store_dwordx4 v[0:1], v[17:20], off
	v_add_co_u32_e32 v0, vcc, v0, v5
	v_cmp_le_i32_e64 s[18:19], s92, v42
	s_or_b64 s[56:57], s[18:19], s[56:57]
	v_addc_co_u32_e32 v1, vcc, v1, v6, vcc
	s_andn2_b64 exec, exec, s[56:57]
	s_cbranch_execnz .LBB0_141
	s_branch .LBB0_69
.LBB0_142:                              ;   in Loop: Header=BB0_70 Depth=2
	s_or_b64 exec, exec, s[60:61]
	s_and_saveexec_b64 s[60:61], s[62:63]
	s_xor_b64 s[60:61], exec, s[60:61]
	s_cbranch_execz .LBB0_144
; %bb.143:                              ;   in Loop: Header=BB0_70 Depth=2
	v_mov_b32_e32 v0, 1
	ds_write_b32 v0, v0
	s_trap 2
.LBB0_144:                              ;   in Loop: Header=BB0_70 Depth=2
	s_or_b64 exec, exec, s[58:59]
	;;#ASMSTART
	s_wakeup
	;;#ASMEND
.LBB0_145:                              ;   in Loop: Header=BB0_70 Depth=2
	s_or_b64 exec, exec, s[56:57]
.LBB0_146:                              ;   in Loop: Header=BB0_70 Depth=2
	s_andn2_saveexec_b64 s[46:47], s[46:47]
	s_cbranch_execz .LBB0_148
; %bb.147:                              ;   in Loop: Header=BB0_70 Depth=2
	s_waitcnt vmcnt(0) lgkmcnt(0)
	buffer_wbinvl1_vol
	s_barrier
.LBB0_148:                              ;   in Loop: Header=BB0_70 Depth=2
	s_or_b64 exec, exec, s[46:47]
	s_or_b64 exec, exec, s[18:19]
	s_and_saveexec_b64 s[18:19], s[14:15]
	s_cbranch_execnz .LBB0_138
	s_branch .LBB0_139
.LBB0_149:                              ;   in Loop: Header=BB0_21 Depth=1
	buffer_load_dword v32, off, s[0:3], s32 offset:96 ; 4-byte Folded Reload
	buffer_load_dword v33, off, s[0:3], s32 offset:100 ; 4-byte Folded Reload
	;; [unrolled: 1-line block ×6, first 2 shown]
.LBB0_150:                              ;   in Loop: Header=BB0_21 Depth=1
	v_mov_b32_e32 v21, v60
	v_mov_b32_e32 v22, v61
	buffer_load_dword v41, off, s[0:3], s32 offset:124 ; 4-byte Folded Reload
	buffer_load_dword v42, off, s[0:3], s32 offset:128 ; 4-byte Folded Reload
	;; [unrolled: 1-line block ×4, first 2 shown]
	s_and_saveexec_b64 s[18:19], s[16:17]
	s_cbranch_execz .LBB0_187
; %bb.151:                              ;   in Loop: Header=BB0_21 Depth=1
	flat_load_dword v8, v[23:24]
	s_waitcnt lgkmcnt(0)
	buffer_load_dword v17, off, s[0:3], s32 offset:148 ; 4-byte Folded Reload
	buffer_load_dword v18, off, s[0:3], s32 offset:152 ; 4-byte Folded Reload
	;; [unrolled: 1-line block ×4, first 2 shown]
	v_add_u32_e32 v40, 1, v36
	s_mov_b64 s[46:47], 0
	s_waitcnt vmcnt(0)
	v_ashrrev_i32_e32 v9, 31, v8
	v_mov_b32_e32 v10, v19
	v_add_co_u32_e32 v0, vcc, v10, v12
	buffer_load_dword v10, off, s[0:3], s32 offset:60 ; 4-byte Folded Reload
	v_mov_b32_e32 v11, v20
	v_addc_co_u32_e32 v1, vcc, v11, v30, vcc
	v_mad_u64_u32 v[0:1], s[16:17], v3, v8, v[0:1]
	v_mul_lo_u32 v9, v3, v9
	s_waitcnt vmcnt(0)
	v_mul_lo_u32 v10, v10, v8
	buffer_load_dword v8, off, s[0:3], s32 offset:112 ; 4-byte Folded Reload
	v_add3_u32 v1, v10, v1, v9
	s_waitcnt vmcnt(0)
	v_add_co_u32_e32 v25, vcc, v0, v8
	buffer_load_dword v0, off, s[0:3], s32 offset:172 ; 4-byte Folded Reload
	v_addc_co_u32_e32 v26, vcc, 0, v1, vcc
	s_waitcnt vmcnt(0)
	v_add_co_u32_e32 v32, vcc, v0, v12
	buffer_load_dword v0, off, s[0:3], s32 offset:176 ; 4-byte Folded Reload
	buffer_load_dword v8, off, s[0:3], s32 offset:72 ; 4-byte Folded Reload
	;; [unrolled: 1-line block ×3, first 2 shown]
	s_waitcnt vmcnt(2)
	v_addc_co_u32_e32 v33, vcc, v0, v30, vcc
	v_and_b32_e32 v0, 7, v36
	v_mul_lo_u32 v0, v0, s92
	v_ashrrev_i32_e32 v1, 31, v0
	v_lshlrev_b64 v[0:1], 4, v[0:1]
	s_waitcnt vmcnt(1)
	v_add_co_u32_e32 v30, vcc, v8, v0
	s_waitcnt vmcnt(0)
	v_addc_co_u32_e32 v31, vcc, v9, v1, vcc
	v_mov_b32_e32 v0, v4
	s_branch .LBB0_153
.LBB0_152:                              ;   in Loop: Header=BB0_153 Depth=2
	v_add_co_u32_e32 v25, vcc, v25, v7
	v_addc_co_u32_e32 v26, vcc, 0, v26, vcc
	v_add_co_u32_e32 v32, vcc, v32, v7
	v_addc_co_u32_e32 v33, vcc, 0, v33, vcc
	v_sub_u32_e32 v62, v62, v7
	v_cmp_gt_i32_e32 vcc, 1, v62
	s_or_b64 s[46:47], vcc, s[46:47]
	v_add_u32_e32 v0, v0, v29
	s_andn2_b64 exec, exec, s[46:47]
	s_cbranch_execz .LBB0_199
.LBB0_153:                              ;   Parent Loop BB0_21 Depth=1
                                        ; =>  This Loop Header: Depth=2
                                        ;       Child Loop BB0_161 Depth 3
	v_and_b32_e32 v11, -4, v25
	v_mov_b32_e32 v12, v26
	global_load_dword v8, v[11:12], off glc slc
	v_min_u32_e32 v1, 8, v62
	v_and_b32_e32 v9, 3, v25
	v_add_u32_e32 v1, v9, v1
	v_cmp_lt_u32_e32 vcc, 4, v1
	v_mov_b32_e32 v9, 0
	v_mov_b32_e32 v10, 0
	s_and_saveexec_b64 s[16:17], vcc
	s_cbranch_execz .LBB0_155
; %bb.154:                              ;   in Loop: Header=BB0_153 Depth=2
	global_load_dword v10, v[11:12], off offset:4 glc slc
.LBB0_155:                              ;   in Loop: Header=BB0_153 Depth=2
	s_or_b64 exec, exec, s[16:17]
	v_cmp_lt_u64_e32 vcc, 8, v[1:2]
	s_and_saveexec_b64 s[16:17], vcc
	s_cbranch_execz .LBB0_157
; %bb.156:                              ;   in Loop: Header=BB0_153 Depth=2
	global_load_dword v9, v[11:12], off offset:8 glc slc
.LBB0_157:                              ;   in Loop: Header=BB0_153 Depth=2
	s_or_b64 exec, exec, s[16:17]
	v_mov_b32_e32 v1, v2
	v_lshlrev_b64 v[11:12], 4, v[0:1]
	v_add_co_u32_e32 v11, vcc, v30, v11
	v_addc_co_u32_e32 v12, vcc, v31, v12, vcc
	global_load_dwordx4 v[17:20], v[11:12], off glc slc
	v_cmp_eq_u32_e32 vcc, 0, v47
	v_mov_b32_e32 v47, 1
	s_and_saveexec_b64 s[56:57], vcc
	s_cbranch_execz .LBB0_169
; %bb.158:                              ;   in Loop: Header=BB0_153 Depth=2
	s_waitcnt vmcnt(0)
	v_cmp_ne_u32_e32 vcc, v40, v18
	v_cmp_ne_u32_e64 s[16:17], v40, v20
	s_or_b64 s[16:17], vcc, s[16:17]
	v_mov_b32_e32 v47, 0
	s_and_saveexec_b64 s[58:59], s[16:17]
	s_cbranch_execz .LBB0_168
; %bb.159:                              ;   in Loop: Header=BB0_153 Depth=2
	s_mov_b32 s26, 1
	s_mov_b64 s[62:63], 0
                                        ; implicit-def: $sgpr60_sgpr61
                                        ; implicit-def: $sgpr72_sgpr73
	s_branch .LBB0_161
.LBB0_160:                              ;   in Loop: Header=BB0_161 Depth=3
	s_or_b64 exec, exec, s[76:77]
	s_and_b64 s[16:17], exec, s[16:17]
	s_or_b64 s[62:63], s[16:17], s[62:63]
	s_andn2_b64 s[16:17], s[60:61], exec
	s_and_b64 s[60:61], s[72:73], exec
	s_or_b64 s[60:61], s[16:17], s[60:61]
	s_andn2_b64 exec, exec, s[62:63]
	s_cbranch_execz .LBB0_165
.LBB0_161:                              ;   Parent Loop BB0_21 Depth=1
                                        ;     Parent Loop BB0_153 Depth=2
                                        ; =>    This Inner Loop Header: Depth=3
	global_load_dwordx4 v[17:20], v[11:12], off glc slc
	s_add_i32 s26, s26, 1
	s_mov_b64 s[16:17], -1
	s_cmpk_lg_i32 s26, 0x2710
	s_mov_b64 s[74:75], -1
                                        ; implicit-def: $vgpr1
	s_cbranch_scc0 .LBB0_163
; %bb.162:                              ;   in Loop: Header=BB0_161 Depth=3
	s_or_b64 s[72:73], s[72:73], exec
	s_and_saveexec_b64 s[76:77], s[74:75]
	s_cbranch_execz .LBB0_160
	s_branch .LBB0_164
.LBB0_163:                              ;   in Loop: Header=BB0_161 Depth=3
	s_trap 2
	ds_read_b64 v[50:51], v0
	s_mov_b32 s26, 0
	s_waitcnt vmcnt(0) lgkmcnt(0)
	flat_load_dword v1, v[50:51] glc
	s_waitcnt vmcnt(0) lgkmcnt(0)
	buffer_wbinvl1_vol
	v_cmp_eq_u32_e32 vcc, 0, v1
	s_orn2_b64 s[74:75], vcc, exec
	s_or_b64 s[72:73], s[72:73], exec
	s_and_saveexec_b64 s[76:77], s[74:75]
	s_cbranch_execz .LBB0_160
.LBB0_164:                              ;   in Loop: Header=BB0_161 Depth=3
	s_waitcnt vmcnt(0)
	v_cmp_eq_u32_e32 vcc, v40, v18
	v_cmp_eq_u32_e64 s[16:17], v40, v20
	s_and_b64 s[16:17], vcc, s[16:17]
	s_andn2_b64 s[72:73], s[72:73], exec
	s_orn2_b64 s[16:17], s[16:17], exec
	s_branch .LBB0_160
.LBB0_165:                              ;   in Loop: Header=BB0_153 Depth=2
	s_or_b64 exec, exec, s[62:63]
	v_mov_b32_e32 v47, 0
	s_and_saveexec_b64 s[16:17], s[60:61]
	s_xor_b64 s[16:17], exec, s[16:17]
	s_cbranch_execz .LBB0_167
; %bb.166:                              ;   in Loop: Header=BB0_153 Depth=2
	v_mov_b32_e32 v47, 1
	ds_write_b32 v0, v1
	s_trap 2
.LBB0_167:                              ;   in Loop: Header=BB0_153 Depth=2
	s_or_b64 exec, exec, s[16:17]
.LBB0_168:                              ;   in Loop: Header=BB0_153 Depth=2
	s_or_b64 exec, exec, s[58:59]
.LBB0_169:                              ;   in Loop: Header=BB0_153 Depth=2
	s_or_b64 exec, exec, s[56:57]
	v_lshlrev_b32_e32 v1, 3, v25
	s_waitcnt vmcnt(0)
	v_alignbit_b32 v8, v10, v8, v1
	v_alignbit_b32 v1, v9, v10, v1
	v_lshrrev_b32_e32 v9, 8, v8
	v_lshrrev_b32_e32 v10, 24, v8
	v_mul_lo_u32 v9, v46, v9
	v_mul_lo_u32 v10, v56, v10
	;; [unrolled: 1-line block ×3, first 2 shown]
	v_lshrrev_b32_e32 v8, 16, v8
	v_mul_lo_u32 v8, v57, v8
	v_perm_b32 v9, v10, v9, s34
	v_lshrrev_b32_e32 v10, 8, v1
	v_lshrrev_b32_e32 v12, 24, v1
	s_waitcnt vmcnt(0)
	v_mul_lo_u32 v18, v27, v1
	v_lshrrev_b32_e32 v1, 16, v1
	v_mul_lo_u32 v20, v57, v1
	v_mul_lo_u32 v10, v46, v10
	;; [unrolled: 1-line block ×3, first 2 shown]
	v_and_b32_e32 v1, 0xff00ff, v17
	v_perm_b32 v8, v8, v11, s94
	v_add_u32_e32 v1, v1, v8
	v_and_b32_e32 v8, 0xff00ff00, v17
	v_add_co_u32_e32 v8, vcc, v8, v9
	v_and_b32_e32 v9, 0xff00ff, v19
	v_perm_b32 v11, v20, v18, s94
	v_perm_b32 v10, v12, v10, s34
	v_add_u32_e32 v9, v9, v11
	v_and_b32_e32 v11, 0xff00ff00, v19
	v_add_co_u32_e32 v10, vcc, v11, v10
	v_cmp_lt_u32_e32 vcc, 7, v62
	s_cmp_lg_u64 vcc, exec
	s_mov_b64 s[16:17], -1
	s_cbranch_scc0 .LBB0_179
; %bb.170:                              ;   in Loop: Header=BB0_153 Depth=2
	v_cmp_ne_u32_e64 s[16:17], 1, v62
	flat_store_byte v[32:33], v1
	s_and_saveexec_b64 s[56:57], s[16:17]
	s_cbranch_execz .LBB0_181
; %bb.171:                              ;   in Loop: Header=BB0_153 Depth=2
	v_lshrrev_b32_e32 v11, 8, v8
	flat_store_byte v[32:33], v11 offset:1
	s_or_b64 exec, exec, s[56:57]
	v_cmp_lt_u32_e64 s[16:17], 2, v62
	s_and_saveexec_b64 s[56:57], s[16:17]
	s_cbranch_execnz .LBB0_182
.LBB0_172:                              ;   in Loop: Header=BB0_153 Depth=2
	s_or_b64 exec, exec, s[56:57]
	v_cmp_lt_u32_e64 s[16:17], 3, v62
	s_and_saveexec_b64 s[56:57], s[16:17]
	s_cbranch_execz .LBB0_183
.LBB0_173:                              ;   in Loop: Header=BB0_153 Depth=2
	v_lshrrev_b32_e32 v11, 24, v8
	flat_store_byte v[32:33], v11 offset:3
	s_or_b64 exec, exec, s[56:57]
	v_cmp_lt_u32_e64 s[16:17], 4, v62
	s_and_saveexec_b64 s[56:57], s[16:17]
	s_cbranch_execnz .LBB0_184
.LBB0_174:                              ;   in Loop: Header=BB0_153 Depth=2
	s_or_b64 exec, exec, s[56:57]
	v_cmp_lt_u32_e64 s[16:17], 5, v62
	s_and_saveexec_b64 s[56:57], s[16:17]
	s_cbranch_execz .LBB0_185
.LBB0_175:                              ;   in Loop: Header=BB0_153 Depth=2
	v_lshrrev_b32_e32 v11, 8, v10
	flat_store_byte v[32:33], v11 offset:5
	s_or_b64 exec, exec, s[56:57]
	v_cmp_lt_u32_e64 s[16:17], 6, v62
	s_and_saveexec_b64 s[56:57], s[16:17]
	s_cbranch_execnz .LBB0_186
.LBB0_176:                              ;   in Loop: Header=BB0_153 Depth=2
	s_or_b64 exec, exec, s[56:57]
	s_and_saveexec_b64 s[16:17], vcc
	s_cbranch_execz .LBB0_178
.LBB0_177:                              ;   in Loop: Header=BB0_153 Depth=2
	v_lshrrev_b32_e32 v11, 24, v10
	flat_store_byte v[32:33], v11 offset:7
.LBB0_178:                              ;   in Loop: Header=BB0_153 Depth=2
	s_or_b64 exec, exec, s[16:17]
	s_mov_b64 s[16:17], 0
.LBB0_179:                              ;   in Loop: Header=BB0_153 Depth=2
	s_and_b64 vcc, exec, s[16:17]
	s_cbranch_vccz .LBB0_152
; %bb.180:                              ;   in Loop: Header=BB0_153 Depth=2
	v_and_b32_e32 v8, 0xff00ff00, v8
	v_perm_b32 v9, v10, v9, s31
	v_and_b32_e32 v1, 0xff00ff, v1
	v_or3_b32 v9, v9, 0, 0
	v_or3_b32 v8, 0, v1, v8
	global_store_dwordx2 v[32:33], v[8:9], off
	s_branch .LBB0_152
.LBB0_181:                              ;   in Loop: Header=BB0_153 Depth=2
	s_or_b64 exec, exec, s[56:57]
	v_cmp_lt_u32_e64 s[16:17], 2, v62
	s_and_saveexec_b64 s[56:57], s[16:17]
	s_cbranch_execz .LBB0_172
.LBB0_182:                              ;   in Loop: Header=BB0_153 Depth=2
	flat_store_byte_d16_hi v[32:33], v1 offset:2
	s_or_b64 exec, exec, s[56:57]
	v_cmp_lt_u32_e64 s[16:17], 3, v62
	s_and_saveexec_b64 s[56:57], s[16:17]
	s_cbranch_execnz .LBB0_173
.LBB0_183:                              ;   in Loop: Header=BB0_153 Depth=2
	s_or_b64 exec, exec, s[56:57]
	v_cmp_lt_u32_e64 s[16:17], 4, v62
	s_and_saveexec_b64 s[56:57], s[16:17]
	s_cbranch_execz .LBB0_174
.LBB0_184:                              ;   in Loop: Header=BB0_153 Depth=2
	flat_store_byte v[32:33], v9 offset:4
	s_or_b64 exec, exec, s[56:57]
	v_cmp_lt_u32_e64 s[16:17], 5, v62
	s_and_saveexec_b64 s[56:57], s[16:17]
	s_cbranch_execnz .LBB0_175
.LBB0_185:                              ;   in Loop: Header=BB0_153 Depth=2
	s_or_b64 exec, exec, s[56:57]
	v_cmp_lt_u32_e64 s[16:17], 6, v62
	s_and_saveexec_b64 s[56:57], s[16:17]
	s_cbranch_execz .LBB0_176
.LBB0_186:                              ;   in Loop: Header=BB0_153 Depth=2
	flat_store_byte_d16_hi v[32:33], v9 offset:6
	s_or_b64 exec, exec, s[56:57]
	s_and_saveexec_b64 s[16:17], vcc
	s_cbranch_execnz .LBB0_177
	s_branch .LBB0_178
.LBB0_187:                              ;   in Loop: Header=BB0_21 Depth=1
	s_or_b64 exec, exec, s[18:19]
	s_and_saveexec_b64 s[16:17], s[10:11]
	s_cbranch_execz .LBB0_200
.LBB0_188:                              ;   in Loop: Header=BB0_21 Depth=1
	s_and_saveexec_b64 s[18:19], s[40:41]
	s_xor_b64 s[18:19], exec, s[18:19]
	s_cbranch_execz .LBB0_205
; %bb.189:                              ;   in Loop: Header=BB0_21 Depth=1
	s_and_saveexec_b64 s[46:47], s[12:13]
	s_cbranch_execz .LBB0_204
; %bb.190:                              ;   in Loop: Header=BB0_21 Depth=1
	s_mov_b64 s[58:59], exec
	s_waitcnt vmcnt(0) lgkmcnt(0)
	v_mbcnt_lo_u32_b32 v0, s58, 0
	v_mbcnt_hi_u32_b32 v0, s59, v0
	v_cmp_eq_u32_e32 vcc, 0, v0
	buffer_wbinvl1_vol
	s_and_saveexec_b64 s[56:57], vcc
	s_cbranch_execz .LBB0_192
; %bb.191:                              ;   in Loop: Header=BB0_21 Depth=1
	s_bcnt1_i32_b64 s26, s[58:59]
	v_mov_b32_e32 v1, s26
	ds_add_u64 v0, v[1:2]
	s_trap 2
.LBB0_192:                              ;   in Loop: Header=BB0_21 Depth=1
	s_or_b64 exec, exec, s[56:57]
	s_trap 2
	ds_read_b64 v[0:1], v0
	s_waitcnt lgkmcnt(0)
	buffer_load_dword v8, off, s[0:3], s32 offset:84 ; 4-byte Folded Reload
	s_waitcnt vmcnt(0)
	v_add_co_u32_e32 v44, vcc, v44, v8
	v_addc_co_u32_e32 v45, vcc, 0, v45, vcc
	v_cmp_lt_u64_e32 vcc, v[0:1], v[44:45]
	s_and_saveexec_b64 s[56:57], vcc
	s_cbranch_execz .LBB0_203
; %bb.193:                              ;   in Loop: Header=BB0_21 Depth=1
	s_mov_b32 s26, 0
	s_mov_b64 s[58:59], 0
                                        ; implicit-def: $sgpr60_sgpr61
                                        ; implicit-def: $sgpr62_sgpr63
	s_branch .LBB0_195
.LBB0_194:                              ;   in Loop: Header=BB0_195 Depth=2
	s_or_b64 exec, exec, s[74:75]
	s_and_b64 s[72:73], exec, s[76:77]
	s_or_b64 s[58:59], s[72:73], s[58:59]
	s_andn2_b64 s[60:61], s[60:61], exec
	s_and_b64 s[72:73], s[62:63], exec
	s_or_b64 s[60:61], s[60:61], s[72:73]
	s_andn2_b64 exec, exec, s[58:59]
	s_cbranch_execz .LBB0_201
.LBB0_195:                              ;   Parent Loop BB0_21 Depth=1
                                        ; =>  This Inner Loop Header: Depth=2
	s_add_i32 s26, s26, 1
	s_cmpk_lg_i32 s26, 0x2710
	s_cselect_b64 s[72:73], -1, 0
	s_and_b64 vcc, exec, s[72:73]
	s_cbranch_vccz .LBB0_197
; %bb.196:                              ;   in Loop: Header=BB0_195 Depth=2
	s_mov_b64 s[76:77], -1
	s_or_b64 s[62:63], s[62:63], exec
	s_and_saveexec_b64 s[74:75], s[72:73]
	s_cbranch_execz .LBB0_194
	s_branch .LBB0_198
.LBB0_197:                              ;   in Loop: Header=BB0_195 Depth=2
	s_trap 2
	ds_read_b64 v[0:1], v0
	s_andn2_b64 s[72:73], s[72:73], exec
	s_mov_b32 s26, 0
	s_waitcnt lgkmcnt(0)
	flat_load_dword v0, v[0:1] glc
	s_waitcnt vmcnt(0) lgkmcnt(0)
	buffer_wbinvl1_vol
	v_cmp_eq_u32_e32 vcc, 0, v0
	s_and_b64 s[74:75], vcc, exec
	s_or_b64 s[72:73], s[72:73], s[74:75]
	s_mov_b64 s[76:77], -1
	s_or_b64 s[62:63], s[62:63], exec
	s_and_saveexec_b64 s[74:75], s[72:73]
	s_cbranch_execz .LBB0_194
.LBB0_198:                              ;   in Loop: Header=BB0_195 Depth=2
	s_sleep 1
	s_trap 2
	ds_read_b64 v[0:1], v0
	s_waitcnt lgkmcnt(0)
	s_andn2_b64 s[62:63], s[62:63], exec
	v_cmp_ge_u64_e32 vcc, v[0:1], v[44:45]
	s_orn2_b64 s[76:77], vcc, exec
	s_branch .LBB0_194
.LBB0_199:                              ;   in Loop: Header=BB0_21 Depth=1
	s_or_b64 exec, exec, s[46:47]
	buffer_load_dword v32, off, s[0:3], s32 offset:96 ; 4-byte Folded Reload
	buffer_load_dword v33, off, s[0:3], s32 offset:100 ; 4-byte Folded Reload
	;; [unrolled: 1-line block ×4, first 2 shown]
	s_or_b64 exec, exec, s[18:19]
	s_and_saveexec_b64 s[16:17], s[10:11]
	s_cbranch_execnz .LBB0_188
.LBB0_200:                              ;   in Loop: Header=BB0_21 Depth=1
	s_or_b64 exec, exec, s[16:17]
	s_and_saveexec_b64 s[16:17], s[14:15]
	s_cbranch_execz .LBB0_20
	s_branch .LBB0_208
.LBB0_201:                              ;   in Loop: Header=BB0_21 Depth=1
	s_or_b64 exec, exec, s[58:59]
	s_and_saveexec_b64 s[58:59], s[60:61]
	s_xor_b64 s[58:59], exec, s[58:59]
	s_cbranch_execz .LBB0_203
; %bb.202:                              ;   in Loop: Header=BB0_21 Depth=1
	v_mov_b32_e32 v0, 1
	ds_write_b32 v0, v0
	s_trap 2
.LBB0_203:                              ;   in Loop: Header=BB0_21 Depth=1
	s_or_b64 exec, exec, s[56:57]
	;;#ASMSTART
	s_wakeup
	;;#ASMEND
.LBB0_204:                              ;   in Loop: Header=BB0_21 Depth=1
	s_or_b64 exec, exec, s[46:47]
.LBB0_205:                              ;   in Loop: Header=BB0_21 Depth=1
	s_andn2_saveexec_b64 s[18:19], s[18:19]
	s_cbranch_execz .LBB0_207
; %bb.206:                              ;   in Loop: Header=BB0_21 Depth=1
	s_waitcnt vmcnt(0) lgkmcnt(0)
	buffer_wbinvl1_vol
	s_barrier
.LBB0_207:                              ;   in Loop: Header=BB0_21 Depth=1
	s_or_b64 exec, exec, s[18:19]
	s_or_b64 exec, exec, s[16:17]
	s_and_saveexec_b64 s[16:17], s[14:15]
	s_cbranch_execz .LBB0_20
.LBB0_208:                              ;   in Loop: Header=BB0_21 Depth=1
	s_waitcnt lgkmcnt(0)
	buffer_load_dword v0, off, s[0:3], s32 offset:64 ; 4-byte Folded Reload
	buffer_load_dword v1, off, s[0:3], s32 offset:68 ; 4-byte Folded Reload
	v_add_co_u32_e32 v48, vcc, 1, v48
	v_addc_co_u32_e32 v49, vcc, 0, v49, vcc
	s_waitcnt vmcnt(0)
	flat_store_dwordx2 v[0:1], v[48:49]
	s_branch .LBB0_20
.LBB0_209:
	s_or_b64 exec, exec, s[28:29]
	buffer_load_dword v31, off, s[0:3], s32 offset:188 ; 4-byte Folded Reload
	buffer_load_dword v19, off, s[0:3], s32 offset:192 ; 4-byte Folded Reload
	;; [unrolled: 1-line block ×6, first 2 shown]
.LBB0_210:
	s_or_b64 exec, exec, s[24:25]
	s_and_saveexec_b64 s[6:7], s[22:23]
	s_cbranch_execz .LBB0_213
; %bb.211:
	s_waitcnt vmcnt(0) lgkmcnt(0)
	flat_store_dwordx2 v[25:26], v[48:49] offset:104
	s_or_b64 exec, exec, s[6:7]
	s_and_saveexec_b64 s[6:7], s[4:5]
	s_cbranch_execnz .LBB0_214
.LBB0_212:
	s_or_b64 exec, exec, s[6:7]
	v_cmp_ne_u32_e32 vcc, 64, v29
	s_and_saveexec_b64 s[4:5], vcc
	s_cbranch_execnz .LBB0_215
	s_branch .LBB0_232
.LBB0_213:
	s_or_b64 exec, exec, s[6:7]
	s_and_saveexec_b64 s[6:7], s[4:5]
	s_cbranch_execz .LBB0_212
.LBB0_214:
	s_waitcnt vmcnt(0) lgkmcnt(0)
	flat_store_dwordx2 v[11:12], v[15:16] offset:104
	s_or_b64 exec, exec, s[6:7]
	v_cmp_ne_u32_e32 vcc, 64, v29
	s_and_saveexec_b64 s[4:5], vcc
	s_cbranch_execz .LBB0_232
.LBB0_215:
	s_waitcnt vmcnt(0)
	v_cmp_ne_u32_sdwa s[6:7], v29, v19 src0_sel:DWORD src1_sel:WORD_0
	s_and_saveexec_b64 s[8:9], s[6:7]
	s_xor_b64 s[6:7], exec, s[8:9]
	s_cbranch_execz .LBB0_230
; %bb.216:
	s_waitcnt lgkmcnt(0)
	v_and_b32_e32 v0, 63, v31
	v_cmp_eq_u32_e32 vcc, 0, v0
	s_and_saveexec_b64 s[8:9], vcc
	s_cbranch_execz .LBB0_229
; %bb.217:
	s_mov_b64 s[12:13], exec
	v_mbcnt_lo_u32_b32 v0, s12, 0
	v_mbcnt_hi_u32_b32 v0, s13, v0
	v_cmp_eq_u32_e32 vcc, 0, v0
	buffer_wbinvl1_vol
	s_and_saveexec_b64 s[10:11], vcc
	s_cbranch_execz .LBB0_219
; %bb.218:
	s_bcnt1_i32_b64 s12, s[12:13]
	v_mov_b32_e32 v0, s12
	v_mov_b32_e32 v1, 0
	ds_add_u64 v0, v[0:1]
	s_trap 2
.LBB0_219:
	s_or_b64 exec, exec, s[10:11]
	v_lshrrev_b32_e32 v0, 6, v29
	s_trap 2
	ds_read_b64 v[2:3], v0
	s_waitcnt lgkmcnt(0)
	v_add_co_u32_e32 v0, vcc, v44, v0
	v_addc_co_u32_e32 v1, vcc, 0, v45, vcc
	v_cmp_lt_u64_e32 vcc, v[2:3], v[0:1]
	s_and_saveexec_b64 s[10:11], vcc
	s_cbranch_execz .LBB0_228
; %bb.220:
	s_mov_b32 s24, 0
	s_mov_b64 s[12:13], 0
                                        ; implicit-def: $sgpr14_sgpr15
                                        ; implicit-def: $sgpr16_sgpr17
	s_branch .LBB0_222
.LBB0_221:                              ;   in Loop: Header=BB0_222 Depth=1
	s_or_b64 exec, exec, s[20:21]
	s_and_b64 s[18:19], exec, s[22:23]
	s_or_b64 s[12:13], s[18:19], s[12:13]
	s_andn2_b64 s[14:15], s[14:15], exec
	s_and_b64 s[18:19], s[16:17], exec
	s_or_b64 s[14:15], s[14:15], s[18:19]
	s_andn2_b64 exec, exec, s[12:13]
	s_cbranch_execz .LBB0_226
.LBB0_222:                              ; =>This Inner Loop Header: Depth=1
	s_add_i32 s24, s24, 1
	s_cmpk_lg_i32 s24, 0x2710
	s_cselect_b64 s[18:19], -1, 0
	s_and_b64 vcc, exec, s[18:19]
	s_cbranch_vccz .LBB0_224
; %bb.223:                              ;   in Loop: Header=BB0_222 Depth=1
	s_mov_b64 s[22:23], -1
	s_or_b64 s[16:17], s[16:17], exec
	s_and_saveexec_b64 s[20:21], s[18:19]
	s_cbranch_execz .LBB0_221
	s_branch .LBB0_225
.LBB0_224:                              ;   in Loop: Header=BB0_222 Depth=1
	s_trap 2
	ds_read_b64 v[2:3], v0
	s_andn2_b64 s[18:19], s[18:19], exec
	s_mov_b32 s24, 0
	s_waitcnt lgkmcnt(0)
	flat_load_dword v2, v[2:3] glc
	s_waitcnt vmcnt(0) lgkmcnt(0)
	buffer_wbinvl1_vol
	v_cmp_eq_u32_e32 vcc, 0, v2
	s_and_b64 s[20:21], vcc, exec
	s_or_b64 s[18:19], s[18:19], s[20:21]
	s_mov_b64 s[22:23], -1
	s_or_b64 s[16:17], s[16:17], exec
	s_and_saveexec_b64 s[20:21], s[18:19]
	s_cbranch_execz .LBB0_221
.LBB0_225:                              ;   in Loop: Header=BB0_222 Depth=1
	s_sleep 1
	s_trap 2
	ds_read_b64 v[2:3], v0
	s_waitcnt lgkmcnt(0)
	s_andn2_b64 s[16:17], s[16:17], exec
	v_cmp_ge_u64_e32 vcc, v[2:3], v[0:1]
	s_orn2_b64 s[22:23], vcc, exec
	s_branch .LBB0_221
.LBB0_226:
	s_or_b64 exec, exec, s[12:13]
	s_and_saveexec_b64 s[12:13], s[14:15]
	s_xor_b64 s[12:13], exec, s[12:13]
	s_cbranch_execz .LBB0_228
; %bb.227:
	v_mov_b32_e32 v0, 1
	ds_write_b32 v0, v0
	s_trap 2
.LBB0_228:
	s_or_b64 exec, exec, s[10:11]
	;;#ASMSTART
	s_wakeup
	;;#ASMEND
.LBB0_229:
	s_or_b64 exec, exec, s[8:9]
.LBB0_230:
	s_andn2_saveexec_b64 s[6:7], s[6:7]
	s_cbranch_execz .LBB0_232
; %bb.231:
	s_waitcnt lgkmcnt(0)
	buffer_wbinvl1_vol
	s_barrier
.LBB0_232:
	s_or_b64 exec, exec, s[4:5]
	buffer_load_dword v62, off, s[0:3], s32 ; 4-byte Folded Reload
	buffer_load_dword v61, off, s[0:3], s32 offset:4 ; 4-byte Folded Reload
	buffer_load_dword v60, off, s[0:3], s32 offset:8 ; 4-byte Folded Reload
	;; [unrolled: 1-line block ×14, first 2 shown]
	v_readlane_b32 s30, v63, 2
	v_readlane_b32 s31, v63, 3
	;; [unrolled: 1-line block ×4, first 2 shown]
	s_or_saveexec_b64 s[4:5], -1
	buffer_load_dword v63, off, s[0:3], s32 offset:212 ; 4-byte Folded Reload
	s_mov_b64 exec, s[4:5]
	s_waitcnt vmcnt(0) lgkmcnt(0)
	s_setpc_b64 s[30:31]
.Lfunc_end0:
	.size	_ZN12_GLOBAL__N_17runRingIh13FuncPreMulSumIhE7ProtoLLLi0ELi1ELi0EEEviiP15ncclDevWorkColl, .Lfunc_end0-_ZN12_GLOBAL__N_17runRingIh13FuncPreMulSumIhE7ProtoLLLi0ELi1ELi0EEEviiP15ncclDevWorkColl
                                        ; -- End function
	.set .L_ZN12_GLOBAL__N_17runRingIh13FuncPreMulSumIhE7ProtoLLLi0ELi1ELi0EEEviiP15ncclDevWorkColl.num_vgpr, 64
	.set .L_ZN12_GLOBAL__N_17runRingIh13FuncPreMulSumIhE7ProtoLLLi0ELi1ELi0EEEviiP15ncclDevWorkColl.num_agpr, 0
	.set .L_ZN12_GLOBAL__N_17runRingIh13FuncPreMulSumIhE7ProtoLLLi0ELi1ELi0EEEviiP15ncclDevWorkColl.numbered_sgpr, 96
	.set .L_ZN12_GLOBAL__N_17runRingIh13FuncPreMulSumIhE7ProtoLLLi0ELi1ELi0EEEviiP15ncclDevWorkColl.num_named_barrier, 0
	.set .L_ZN12_GLOBAL__N_17runRingIh13FuncPreMulSumIhE7ProtoLLLi0ELi1ELi0EEEviiP15ncclDevWorkColl.private_seg_size, 220
	.set .L_ZN12_GLOBAL__N_17runRingIh13FuncPreMulSumIhE7ProtoLLLi0ELi1ELi0EEEviiP15ncclDevWorkColl.uses_vcc, 1
	.set .L_ZN12_GLOBAL__N_17runRingIh13FuncPreMulSumIhE7ProtoLLLi0ELi1ELi0EEEviiP15ncclDevWorkColl.uses_flat_scratch, 0
	.set .L_ZN12_GLOBAL__N_17runRingIh13FuncPreMulSumIhE7ProtoLLLi0ELi1ELi0EEEviiP15ncclDevWorkColl.has_dyn_sized_stack, 0
	.set .L_ZN12_GLOBAL__N_17runRingIh13FuncPreMulSumIhE7ProtoLLLi0ELi1ELi0EEEviiP15ncclDevWorkColl.has_recursion, 0
	.set .L_ZN12_GLOBAL__N_17runRingIh13FuncPreMulSumIhE7ProtoLLLi0ELi1ELi0EEEviiP15ncclDevWorkColl.has_indirect_call, 0
	.section	.AMDGPU.csdata,"",@progbits
; Function info:
; codeLenInByte = 8684
; TotalNumSgprs: 100
; NumVgprs: 64
; ScratchSize: 220
; MemoryBound: 0
	.text
	.p2align	2                               ; -- Begin function _Z52ncclDevFunc_ReduceScatter_RING_LL_PreMulSum_u8_0_0_1v
	.type	_Z52ncclDevFunc_ReduceScatter_RING_LL_PreMulSum_u8_0_0_1v,@function
_Z52ncclDevFunc_ReduceScatter_RING_LL_PreMulSum_u8_0_0_1v: ; @_Z52ncclDevFunc_ReduceScatter_RING_LL_PreMulSum_u8_0_0_1v
; %bb.0:
	s_waitcnt vmcnt(0) expcnt(0) lgkmcnt(0)
	s_mov_b32 s4, s33
	s_mov_b32 s33, s32
	s_or_saveexec_b64 s[6:7], -1
	buffer_store_dword v43, off, s[0:3], s33 offset:16 ; 4-byte Folded Spill
	s_mov_b64 exec, s[6:7]
	v_writelane_b32 v43, s4, 10
	s_addk_i32 s32, 0x800
	buffer_store_dword v40, off, s[0:3], s33 offset:12 ; 4-byte Folded Spill
	buffer_store_dword v41, off, s[0:3], s33 offset:8 ; 4-byte Folded Spill
	buffer_store_dword v42, off, s[0:3], s33 offset:4 ; 4-byte Folded Spill
	buffer_store_dword v63, off, s[0:3], s33 ; 4-byte Folded Spill
	v_writelane_b32 v43, s34, 0
	v_writelane_b32 v43, s35, 1
	;; [unrolled: 1-line block ×10, first 2 shown]
	s_trap 2
	ds_read_b32 v0, v0
	v_mov_b32_e32 v40, v31
	v_and_b32_e32 v41, 0x3ff, v40
	s_mov_b32 s38, s12
	s_mov_b64 s[36:37], s[8:9]
	s_waitcnt lgkmcnt(0)
	v_cmp_lt_i32_e32 vcc, v41, v0
	s_and_saveexec_b64 s[4:5], vcc
	s_cbranch_execz .LBB1_5
; %bb.1:
	s_load_dword s6, s[36:37], 0x0
	v_mov_b32_e32 v1, 0
	s_mov_b32 s10, 0
	v_mov_b32_e32 v4, v41
                                        ; implicit-def: $vgpr3
	s_waitcnt lgkmcnt(0)
	s_cmp_lt_u32 s38, s6
	s_cselect_b32 s6, 12, 18
	s_add_u32 s6, s36, s6
	s_addc_u32 s7, s37, 0
	global_load_ushort v1, v1, s[6:7]
	s_trap 2
	ds_read_b32 v2, v0
	s_mov_b64 s[6:7], 0
	s_waitcnt vmcnt(0) lgkmcnt(0)
	v_mul_lo_u32 v2, v2, v1
	s_branch .LBB1_3
.LBB1_2:                                ;   in Loop: Header=BB1_3 Depth=1
	s_or_b64 exec, exec, s[8:9]
	v_add_u32_e32 v4, v4, v1
	v_cmp_ge_i32_e32 vcc, v4, v0
	s_or_b64 s[6:7], vcc, s[6:7]
	v_add_u32_e32 v3, v3, v2
	s_andn2_b64 exec, exec, s[6:7]
	s_cbranch_execz .LBB1_5
.LBB1_3:                                ; =>This Inner Loop Header: Depth=1
	ds_read_b32 v5, v3
	s_waitcnt lgkmcnt(0)
	v_and_b32_e32 v5, 0x1000000, v5
	v_cmp_ne_u32_e32 vcc, 0, v5
	s_and_saveexec_b64 s[8:9], vcc
	s_cbranch_execz .LBB1_2
; %bb.4:                                ;   in Loop: Header=BB1_3 Depth=1
	ds_read_b64 v[5:6], v3 offset:104
	s_waitcnt lgkmcnt(0)
	flat_load_ubyte v5, v[5:6]
	v_mov_b32_e32 v6, s10
	s_waitcnt vmcnt(0) lgkmcnt(0)
	v_and_b32_e32 v5, 0xffff, v5
	ds_write_b64 v3, v[5:6] offset:104
	s_branch .LBB1_2
.LBB1_5:
	s_or_b64 exec, exec, s[4:5]
	s_waitcnt vmcnt(0) lgkmcnt(0)
	s_barrier
	s_trap 2
	ds_read_b32 v0, v0
	s_waitcnt lgkmcnt(0)
	v_cmp_gt_i32_e32 vcc, 1, v0
	s_cbranch_vccnz .LBB1_13
; %bb.6:
	s_mov_b32 s39, 0
	v_mov_b32_e32 v42, 6
	s_branch .LBB1_8
.LBB1_7:                                ;   in Loop: Header=BB1_8 Depth=1
	s_or_b64 exec, exec, s[48:49]
	s_trap 2
	ds_read_b32 v0, v0
	s_add_i32 s39, s39, 1
	s_waitcnt lgkmcnt(0)
	v_cmp_lt_i32_e32 vcc, s39, v0
	s_cbranch_vccz .LBB1_13
.LBB1_8:                                ; =>This Inner Loop Header: Depth=1
	s_trap 2
	ds_read_b32 v0, v0
	s_cmp_eq_u32 s39, 0
	s_cbranch_scc1 .LBB1_11
; %bb.9:                                ;   in Loop: Header=BB1_8 Depth=1
	s_trap 2
	s_waitcnt lgkmcnt(0)
	ds_read_b32 v1, v0
	s_waitcnt lgkmcnt(0)
	v_xor_b32_e32 v1, v1, v0
	v_and_b32_e32 v1, 0xff0000, v1
	v_cmp_eq_u32_e32 vcc, 0, v1
	s_cbranch_vccnz .LBB1_11
; %bb.10:                               ;   in Loop: Header=BB1_8 Depth=1
	s_barrier
	ds_read_b32 v0, v0
.LBB1_11:                               ;   in Loop: Header=BB1_8 Depth=1
	s_waitcnt lgkmcnt(0)
	v_lshlrev_b32_sdwa v1, v42, v0 dst_sel:DWORD dst_unused:UNUSED_PAD src0_sel:DWORD src1_sel:BYTE_2
	v_cmp_lt_u32_e32 vcc, v41, v1
	s_and_saveexec_b64 s[48:49], vcc
	s_cbranch_execz .LBB1_7
; %bb.12:                               ;   in Loop: Header=BB1_8 Depth=1
	s_mov_b64 s[4:5], src_shared_base
	s_getpc_b64 s[6:7]
	s_add_u32 s6, s6, _ZN12_GLOBAL__N_17runRingIh13FuncPreMulSumIhE7ProtoLLLi0ELi1ELi0EEEviiP15ncclDevWorkColl@rel32@lo+4
	s_addc_u32 s7, s7, _ZN12_GLOBAL__N_17runRingIh13FuncPreMulSumIhE7ProtoLLLi0ELi1ELi0EEEviiP15ncclDevWorkColl@rel32@hi+12
	s_mov_b64 s[8:9], s[36:37]
	s_mov_b32 s12, s38
	v_mov_b32_e32 v31, v40
	v_mov_b32_e32 v0, v41
	;; [unrolled: 1-line block ×3, first 2 shown]
	s_swappc_b64 s[30:31], s[6:7]
	s_branch .LBB1_7
.LBB1_13:
	buffer_load_dword v63, off, s[0:3], s33 ; 4-byte Folded Reload
	buffer_load_dword v42, off, s[0:3], s33 offset:4 ; 4-byte Folded Reload
	buffer_load_dword v41, off, s[0:3], s33 offset:8 ; 4-byte Folded Reload
	;; [unrolled: 1-line block ×3, first 2 shown]
	v_readlane_b32 s30, v43, 8
	v_readlane_b32 s31, v43, 9
	;; [unrolled: 1-line block ×10, first 2 shown]
	s_mov_b32 s32, s33
	v_readlane_b32 s4, v43, 10
	s_or_saveexec_b64 s[6:7], -1
	buffer_load_dword v43, off, s[0:3], s33 offset:16 ; 4-byte Folded Reload
	s_mov_b64 exec, s[6:7]
	s_mov_b32 s33, s4
	s_waitcnt vmcnt(0)
	s_setpc_b64 s[30:31]
.Lfunc_end1:
	.size	_Z52ncclDevFunc_ReduceScatter_RING_LL_PreMulSum_u8_0_0_1v, .Lfunc_end1-_Z52ncclDevFunc_ReduceScatter_RING_LL_PreMulSum_u8_0_0_1v
                                        ; -- End function
	.set .L_Z52ncclDevFunc_ReduceScatter_RING_LL_PreMulSum_u8_0_0_1v.num_vgpr, max(64, .L_ZN12_GLOBAL__N_17runRingIh13FuncPreMulSumIhE7ProtoLLLi0ELi1ELi0EEEviiP15ncclDevWorkColl.num_vgpr)
	.set .L_Z52ncclDevFunc_ReduceScatter_RING_LL_PreMulSum_u8_0_0_1v.num_agpr, max(0, .L_ZN12_GLOBAL__N_17runRingIh13FuncPreMulSumIhE7ProtoLLLi0ELi1ELi0EEEviiP15ncclDevWorkColl.num_agpr)
	.set .L_Z52ncclDevFunc_ReduceScatter_RING_LL_PreMulSum_u8_0_0_1v.numbered_sgpr, max(50, .L_ZN12_GLOBAL__N_17runRingIh13FuncPreMulSumIhE7ProtoLLLi0ELi1ELi0EEEviiP15ncclDevWorkColl.numbered_sgpr)
	.set .L_Z52ncclDevFunc_ReduceScatter_RING_LL_PreMulSum_u8_0_0_1v.num_named_barrier, max(0, .L_ZN12_GLOBAL__N_17runRingIh13FuncPreMulSumIhE7ProtoLLLi0ELi1ELi0EEEviiP15ncclDevWorkColl.num_named_barrier)
	.set .L_Z52ncclDevFunc_ReduceScatter_RING_LL_PreMulSum_u8_0_0_1v.private_seg_size, 32+max(.L_ZN12_GLOBAL__N_17runRingIh13FuncPreMulSumIhE7ProtoLLLi0ELi1ELi0EEEviiP15ncclDevWorkColl.private_seg_size)
	.set .L_Z52ncclDevFunc_ReduceScatter_RING_LL_PreMulSum_u8_0_0_1v.uses_vcc, or(1, .L_ZN12_GLOBAL__N_17runRingIh13FuncPreMulSumIhE7ProtoLLLi0ELi1ELi0EEEviiP15ncclDevWorkColl.uses_vcc)
	.set .L_Z52ncclDevFunc_ReduceScatter_RING_LL_PreMulSum_u8_0_0_1v.uses_flat_scratch, or(0, .L_ZN12_GLOBAL__N_17runRingIh13FuncPreMulSumIhE7ProtoLLLi0ELi1ELi0EEEviiP15ncclDevWorkColl.uses_flat_scratch)
	.set .L_Z52ncclDevFunc_ReduceScatter_RING_LL_PreMulSum_u8_0_0_1v.has_dyn_sized_stack, or(0, .L_ZN12_GLOBAL__N_17runRingIh13FuncPreMulSumIhE7ProtoLLLi0ELi1ELi0EEEviiP15ncclDevWorkColl.has_dyn_sized_stack)
	.set .L_Z52ncclDevFunc_ReduceScatter_RING_LL_PreMulSum_u8_0_0_1v.has_recursion, or(1, .L_ZN12_GLOBAL__N_17runRingIh13FuncPreMulSumIhE7ProtoLLLi0ELi1ELi0EEEviiP15ncclDevWorkColl.has_recursion)
	.set .L_Z52ncclDevFunc_ReduceScatter_RING_LL_PreMulSum_u8_0_0_1v.has_indirect_call, or(0, .L_ZN12_GLOBAL__N_17runRingIh13FuncPreMulSumIhE7ProtoLLLi0ELi1ELi0EEEviiP15ncclDevWorkColl.has_indirect_call)
	.section	.AMDGPU.csdata,"",@progbits
; Function info:
; codeLenInByte = 768
; TotalNumSgprs: 100
; NumVgprs: 64
; ScratchSize: 252
; MemoryBound: 0
	.text
	.p2align	2                               ; -- Begin function _ZN12_GLOBAL__N_17runRingIh13FuncPreMulSumIhE7ProtoLLLi0ELi2ELi0EEEviiP15ncclDevWorkColl
	.type	_ZN12_GLOBAL__N_17runRingIh13FuncPreMulSumIhE7ProtoLLLi0ELi2ELi0EEEviiP15ncclDevWorkColl,@function
_ZN12_GLOBAL__N_17runRingIh13FuncPreMulSumIhE7ProtoLLLi0ELi2ELi0EEEviiP15ncclDevWorkColl: ; @_ZN12_GLOBAL__N_17runRingIh13FuncPreMulSumIhE7ProtoLLLi0ELi2ELi0EEEviiP15ncclDevWorkColl
; %bb.0:
	s_waitcnt vmcnt(0) expcnt(0) lgkmcnt(0)
	s_or_saveexec_b64 s[4:5], -1
	buffer_store_dword v63, off, s[0:3], s32 offset:212 ; 4-byte Folded Spill
	s_mov_b64 exec, s[4:5]
	buffer_store_dword v40, off, s[0:3], s32 offset:56 ; 4-byte Folded Spill
	buffer_store_dword v41, off, s[0:3], s32 offset:52 ; 4-byte Folded Spill
	;; [unrolled: 1-line block ×14, first 2 shown]
	buffer_store_dword v62, off, s[0:3], s32 ; 4-byte Folded Spill
	v_writelane_b32 v63, s34, 0
	v_writelane_b32 v63, s35, 1
	;; [unrolled: 1-line block ×4, first 2 shown]
	v_mov_b32_e32 v29, v1
	v_mov_b32_e32 v4, v0
	s_trap 2
	flat_load_dword v8, v[2:3]
	flat_load_dwordx4 v[32:35], v[2:3] offset:72
	flat_load_dwordx2 v[0:1], v[2:3] offset:88
	s_waitcnt vmcnt(0) lgkmcnt(0)
	v_not_b32_sdwa v7, v8 dst_sel:DWORD dst_unused:UNUSED_PAD src0_sel:BYTE_0
	v_add_u32_sdwa v5, v8, v7 dst_sel:DWORD dst_unused:UNUSED_PAD src0_sel:BYTE_1 src1_sel:DWORD
	ds_read_b32 v6, v0
	ds_read_b64 v[23:24], v0
	v_ashrrev_i32_e32 v9, 31, v5
	v_mul_lo_u32 v10, v35, v5
	v_mad_u64_u32 v[17:18], s[4:5], v34, v5, 0
	v_mul_lo_u32 v5, v34, v9
	s_waitcnt lgkmcnt(1)
	v_readfirstlane_b32 s20, v6
	v_cmp_ne_u32_sdwa s[4:5], v6, v8 src0_sel:DWORD src1_sel:BYTE_0
	v_add3_u32 v5, v18, v5, v10
                                        ; implicit-def: $vgpr18_vgpr19
                                        ; implicit-def: $vgpr9_vgpr10
                                        ; kill: killed $vgpr9_vgpr10
	s_and_saveexec_b64 s[6:7], s[4:5]
	s_xor_b64 s[4:5], exec, s[6:7]
	s_cbranch_execz .LBB2_6
; %bb.1:
	v_cmp_ne_u32_sdwa s[6:7], v6, v8 src0_sel:DWORD src1_sel:BYTE_1
                                        ; implicit-def: $vgpr18_vgpr19
                                        ; implicit-def: $vgpr8_vgpr9
                                        ; kill: killed $vgpr8_vgpr9
	s_and_saveexec_b64 s[10:11], s[6:7]
	s_xor_b64 s[6:7], exec, s[10:11]
	s_cbranch_execz .LBB2_3
; %bb.2:
	flat_load_dwordx2 v[8:9], v[2:3] offset:96
	v_add_u32_e32 v6, v6, v7
	v_ashrrev_i32_e32 v7, 31, v6
	v_mul_lo_u32 v7, v34, v7
	v_mul_lo_u32 v10, v35, v6
	v_mad_u64_u32 v[11:12], s[10:11], v34, v6, v[32:33]
	v_add3_u32 v12, v10, v12, v7
	buffer_store_dword v11, off, s[0:3], s32 offset:116 ; 4-byte Folded Spill
	s_nop 0
	buffer_store_dword v12, off, s[0:3], s32 offset:120 ; 4-byte Folded Spill
	s_waitcnt vmcnt(0) lgkmcnt(0)
	v_lshrrev_b64 v[18:19], 17, v[8:9]
.LBB2_3:
	s_andn2_saveexec_b64 s[6:7], s[6:7]
	s_cbranch_execz .LBB2_5
; %bb.4:
	flat_load_dword v6, v[2:3] offset:100
	v_add_co_u32_e32 v7, vcc, v17, v32
	v_mov_b32_e32 v35, v1
	v_addc_co_u32_e32 v8, vcc, v5, v33, vcc
	v_mov_b32_e32 v34, v0
	buffer_store_dword v7, off, s[0:3], s32 offset:116 ; 4-byte Folded Spill
	s_nop 0
	buffer_store_dword v8, off, s[0:3], s32 offset:120 ; 4-byte Folded Spill
	s_waitcnt vmcnt(0) lgkmcnt(0)
	v_lshrrev_b32_e32 v18, 6, v6
.LBB2_5:
	s_or_b64 exec, exec, s[6:7]
.LBB2_6:
	s_andn2_saveexec_b64 s[4:5], s[4:5]
	s_cbranch_execz .LBB2_8
; %bb.7:
	flat_load_dwordx2 v[6:7], v[2:3] offset:96
	v_mov_b32_e32 v35, v33
	v_mov_b32_e32 v34, v32
	s_waitcnt vmcnt(0) lgkmcnt(0)
	v_lshlrev_b64 v[18:19], 4, v[6:7]
	v_mov_b32_e32 v6, 0
	v_mov_b32_e32 v7, 0
	buffer_store_dword v6, off, s[0:3], s32 offset:116 ; 4-byte Folded Spill
	s_nop 0
	buffer_store_dword v7, off, s[0:3], s32 offset:120 ; 4-byte Folded Spill
.LBB2_8:
	s_or_b64 exec, exec, s[4:5]
	flat_load_dwordx2 v[27:28], v[2:3] offset:104
	flat_load_ushort v7, v[2:3] offset:8
	flat_load_dword v6, v[2:3] offset:4
	flat_load_dwordx4 v[8:11], v[2:3] offset:16
	s_load_dword s4, s[8:9], 0x0
	v_mov_b32_e32 v3, 0
	s_mov_b32 s6, 0
	s_waitcnt vmcnt(0) lgkmcnt(0)
	buffer_store_dword v8, off, s[0:3], s32 offset:148 ; 4-byte Folded Spill
	s_nop 0
	buffer_store_dword v9, off, s[0:3], s32 offset:152 ; 4-byte Folded Spill
	buffer_store_dword v10, off, s[0:3], s32 offset:156 ; 4-byte Folded Spill
	;; [unrolled: 1-line block ×3, first 2 shown]
	s_cmp_lt_u32 s12, s4
	s_cselect_b32 s4, 12, 18
	s_add_u32 s4, s8, s4
	s_addc_u32 s5, s9, 0
	global_load_ushort v19, v3, s[4:5]
	s_trap 2
	ds_read_b32 v2, v0
	v_lshrrev_b64 v[6:7], 31, v[6:7]
	v_mov_b32_e32 v11, 0
	v_and_b32_e32 v7, 3, v6
	v_and_b32_e32 v6, 63, v4
	s_waitcnt lgkmcnt(0)
	v_cmp_gt_i32_e32 vcc, 0, v2
	v_readfirstlane_b32 s8, v2
	v_mov_b32_e32 v12, 0
	v_cmp_eq_u32_e64 s[4:5], 0, v6
	s_cbranch_vccnz .LBB2_10
; %bb.9:
	s_trap 2
	ds_read_b64 v[8:9], v0
	v_lshlrev_b64 v[2:3], 3, v[2:3]
	s_movk_i32 s6, 0xa8
	s_waitcnt lgkmcnt(0)
	v_add_co_u32_e32 v2, vcc, v8, v2
	v_addc_co_u32_e32 v3, vcc, v9, v3, vcc
	flat_load_dwordx2 v[2:3], v[2:3]
	v_and_b32_e32 v8, 0xffff, v7
	s_waitcnt vmcnt(0) lgkmcnt(0)
	v_mad_u64_u32 v[2:3], s[6:7], v8, s6, v[2:3]
	s_mov_b32 s6, 1
	flat_load_dwordx2 v[8:9], v[2:3] offset:504
	v_add_co_u32_e32 v25, vcc, 0x1f8, v2
	v_addc_co_u32_e32 v26, vcc, 0, v3, vcc
	s_waitcnt vmcnt(0) lgkmcnt(0)
	buffer_store_dword v8, off, s[0:3], s32 offset:72 ; 4-byte Folded Spill
	s_nop 0
	buffer_store_dword v9, off, s[0:3], s32 offset:76 ; 4-byte Folded Spill
	flat_load_dwordx2 v[36:37], v[2:3] offset:608
	v_cndmask_b32_e64 v3, 0, v26, s[4:5]
	v_cndmask_b32_e64 v2, 0, v25, s[4:5]
	s_branch .LBB2_11
.LBB2_10:
	v_mov_b32_e32 v25, 0
	v_mov_b32_e32 v2, 0
	;; [unrolled: 1-line block ×4, first 2 shown]
                                        ; implicit-def: $vgpr36_vgpr37
                                        ; implicit-def: $vgpr8_vgpr9
                                        ; kill: killed $vgpr8_vgpr9
.LBB2_11:
	s_trap 2
	ds_read_b32 v9, v0
	s_waitcnt lgkmcnt(0)
	v_cmp_gt_i32_e32 vcc, 0, v9
	s_cbranch_vccnz .LBB2_13
; %bb.12:
	s_trap 2
	ds_read_b64 v[11:12], v0
	v_mov_b32_e32 v10, 0
	v_lshlrev_b64 v[8:9], 3, v[9:10]
	v_and_b32_e32 v7, 0xffff, v7
	s_movk_i32 s4, 0xa8
	s_waitcnt lgkmcnt(0)
	v_add_co_u32_e32 v8, vcc, v11, v8
	v_addc_co_u32_e32 v9, vcc, v12, v9, vcc
	flat_load_dwordx2 v[8:9], v[8:9]
	v_cmp_eq_u32_e32 vcc, 0, v6
	s_waitcnt vmcnt(0) lgkmcnt(0)
	v_mad_u64_u32 v[11:12], s[4:5], v7, s4, v[8:9]
	flat_load_dwordx2 v[38:39], v[11:12]
	flat_load_dwordx2 v[21:22], v[11:12] offset:104
	v_cndmask_b32_e32 v10, 0, v12, vcc
	v_cndmask_b32_e32 v9, 0, v11, vcc
	s_branch .LBB2_14
.LBB2_13:
	v_mov_b32_e32 v9, 0
	v_mov_b32_e32 v10, 0
                                        ; implicit-def: $vgpr21_vgpr22
                                        ; implicit-def: $vgpr38_vgpr39
.LBB2_14:
	v_subrev_u32_e32 v7, 64, v29
	v_cmp_ge_i32_e32 vcc, v4, v7
	v_cmp_gt_u32_e64 s[4:5], s6, v6
	v_mov_b32_e32 v13, 0
	v_mov_b32_e32 v6, 0
	;; [unrolled: 1-line block ×4, first 2 shown]
	s_and_b64 s[22:23], vcc, s[4:5]
	buffer_store_dword v6, off, s[0:3], s32 offset:64 ; 4-byte Folded Spill
	s_nop 0
	buffer_store_dword v7, off, s[0:3], s32 offset:68 ; 4-byte Folded Spill
                                        ; implicit-def: $vgpr48_vgpr49
	s_and_saveexec_b64 s[4:5], s[22:23]
	s_cbranch_execz .LBB2_16
; %bb.15:
	flat_load_dwordx2 v[6:7], v[2:3] offset:56
	s_waitcnt vmcnt(0) lgkmcnt(0)
	buffer_store_dword v6, off, s[0:3], s32 offset:64 ; 4-byte Folded Spill
	s_nop 0
	buffer_store_dword v7, off, s[0:3], s32 offset:68 ; 4-byte Folded Spill
	flat_load_dwordx2 v[48:49], v[2:3] offset:104
.LBB2_16:
	s_or_b64 exec, exec, s[4:5]
	v_mov_b32_e32 v52, 0
	v_mov_b32_e32 v53, 0
	v_cmp_gt_u32_e64 s[4:5], s6, v4
                                        ; implicit-def: $vgpr54_vgpr55
	s_and_saveexec_b64 s[6:7], s[4:5]
	s_cbranch_execz .LBB2_18
; %bb.17:
	flat_load_dwordx2 v[52:53], v[9:10] offset:56
	s_waitcnt vmcnt(0) lgkmcnt(0)
	flat_load_dwordx2 v[54:55], v[52:53] glc
	s_waitcnt vmcnt(0)
	flat_load_dwordx4 v[13:16], v[9:10] offset:96
.LBB2_18:
	s_or_b64 exec, exec, s[6:7]
	v_mov_b32_e32 v44, 0
	v_cmp_ne_u64_e32 vcc, 0, v[34:35]
	v_mov_b32_e32 v45, 0
	s_and_saveexec_b64 s[24:25], vcc
	s_cbranch_execz .LBB2_210
; %bb.19:
	v_add_co_u32_e32 v0, vcc, v0, v32
	s_ashr_i32 s6, s8, 31
	v_addc_co_u32_e32 v1, vcc, v1, v33, vcc
	s_lshr_b32 s6, s6, 29
	v_add_co_u32_e32 v3, vcc, v0, v17
	s_ashr_i32 s21, s20, 31
	s_add_i32 s8, s8, s6
	v_addc_co_u32_e32 v0, vcc, v1, v5, vcc
	s_lshl_b64 s[6:7], s[20:21], 2
	buffer_store_dword v25, off, s[0:3], s32 offset:204 ; 4-byte Folded Spill
	s_nop 0
	buffer_store_dword v26, off, s[0:3], s32 offset:208 ; 4-byte Folded Spill
	buffer_store_dword v11, off, s[0:3], s32 offset:196 ; 4-byte Folded Spill
	s_nop 0
	buffer_store_dword v12, off, s[0:3], s32 offset:200 ; 4-byte Folded Spill
	buffer_store_dword v0, off, s[0:3], s32 offset:60 ; 4-byte Folded Spill
	v_mov_b32_e32 v0, s7
	v_add_co_u32_e32 v1, vcc, s6, v23
	v_addc_co_u32_e32 v0, vcc, v24, v0, vcc
	v_add_co_u32_e32 v5, vcc, -4, v1
	v_addc_co_u32_e32 v6, vcc, -1, v0, vcc
	v_and_b32_e32 v0, 63, v31
	v_cmp_eq_u32_e64 s[12:13], 0, v0
	v_lshrrev_b32_e32 v0, 6, v29
	buffer_store_dword v5, off, s[0:3], s32 offset:132 ; 4-byte Folded Spill
	s_nop 0
	buffer_store_dword v6, off, s[0:3], s32 offset:136 ; 4-byte Folded Spill
	s_waitcnt vmcnt(0)
	buffer_store_dword v19, off, s[0:3], s32 offset:192 ; 4-byte Folded Spill
	buffer_store_dword v31, off, s[0:3], s32 offset:188 ; 4-byte Folded Spill
	;; [unrolled: 1-line block ×3, first 2 shown]
	buffer_load_dword v8, off, s[0:3], s32 offset:148 ; 4-byte Folded Reload
	buffer_load_dword v9, off, s[0:3], s32 offset:152 ; 4-byte Folded Reload
	;; [unrolled: 1-line block ×4, first 2 shown]
	v_lshlrev_b32_e32 v5, 3, v4
	v_mov_b32_e32 v2, 0
	s_ashr_i32 s10, s8, 3
	v_lshlrev_b64 v[56:57], 24, v[27:28]
	s_ashr_i32 s92, s8, 7
	s_and_b32 s21, s10, -16
	v_lshlrev_b64 v[57:58], 16, v[27:28]
	v_mov_b32_e32 v30, v2
	v_cmp_ne_u64_e64 s[6:7], 0, v[52:53]
	s_waitcnt lgkmcnt(0)
	v_cmp_ne_u64_e64 s[8:9], 0, v[13:14]
	v_lshlrev_b64 v[46:47], 8, v[27:28]
	s_cmp_gt_i32 s20, 2
	v_mov_b32_e32 v58, 0
	v_mov_b32_e32 v44, 0
	v_and_b32_e32 v41, 0x1fffff0, v18
	s_mov_b32 s27, 0
	v_mov_b32_e32 v42, v2
	s_mov_b64 s[28:29], 0
	v_cmp_ne_u32_e64 s[10:11], 64, v29
	v_cmp_ne_u32_sdwa s[40:41], v29, v19 src0_sel:DWORD src1_sel:WORD_0
	v_lshlrev_b32_e32 v7, 3, v29
	s_cselect_b64 s[42:43], -1, 0
	v_lshlrev_b32_e32 v28, 6, v29
	s_mov_b64 s[44:45], 0x7ffffff8
	s_mov_b32 s93, 0xff00
	s_mov_b32 s94, 0xc060c00
	;; [unrolled: 1-line block ×3, first 2 shown]
	s_movk_i32 s30, 0xff
	s_mov_b32 s31, 0x7020500
	s_mov_b32 s34, 0x70c010c
	v_mov_b32_e32 v47, 0
	v_mov_b32_e32 v59, 0
	;; [unrolled: 1-line block ×3, first 2 shown]
	s_waitcnt vmcnt(1)
	v_add_co_u32_e32 v0, vcc, v10, v5
	buffer_store_dword v0, off, s[0:3], s32 offset:164 ; 4-byte Folded Spill
	s_waitcnt vmcnt(1)
	v_addc_co_u32_e32 v0, vcc, 0, v11, vcc
	buffer_store_dword v0, off, s[0:3], s32 offset:168 ; 4-byte Folded Spill
	buffer_load_dword v0, off, s[0:3], s32 offset:64 ; 4-byte Folded Reload
	s_nop 0
	buffer_load_dword v1, off, s[0:3], s32 offset:68 ; 4-byte Folded Reload
	s_waitcnt vmcnt(0)
	v_cmp_ne_u64_e64 s[14:15], 0, v[0:1]
	v_add_co_u32_e32 v0, vcc, v8, v5
	buffer_store_dword v0, off, s[0:3], s32 offset:172 ; 4-byte Folded Spill
	v_addc_co_u32_e32 v0, vcc, 0, v9, vcc
	buffer_store_dword v0, off, s[0:3], s32 offset:176 ; 4-byte Folded Spill
	buffer_load_dword v0, off, s[0:3], s32 offset:116 ; 4-byte Folded Reload
	s_nop 0
	buffer_load_dword v1, off, s[0:3], s32 offset:120 ; 4-byte Folded Reload
	v_mov_b32_e32 v8, v34
	buffer_store_dword v5, off, s[0:3], s32 offset:112 ; 4-byte Folded Spill
	v_mov_b32_e32 v9, v35
	s_waitcnt vmcnt(2)
	v_add_co_u32_e32 v0, vcc, v0, v10
	s_waitcnt vmcnt(1)
	v_addc_co_u32_e32 v1, vcc, v1, v11, vcc
	v_add_co_u32_e32 v60, vcc, v0, v5
	v_mov_b32_e32 v5, v2
	v_addc_co_u32_e32 v61, vcc, 0, v1, vcc
	v_lshlrev_b64 v[0:1], 4, v[4:5]
	v_lshlrev_b64 v[5:6], 4, v[29:30]
	v_add_co_u32_e32 v0, vcc, v38, v0
	buffer_store_dword v0, off, s[0:3], s32 offset:180 ; 4-byte Folded Spill
	v_addc_co_u32_e32 v0, vcc, v39, v1, vcc
	buffer_store_dword v0, off, s[0:3], s32 offset:184 ; 4-byte Folded Spill
	buffer_store_dword v6, off, s[0:3], s32 offset:96 ; 4-byte Folded Spill
	s_nop 0
	buffer_store_dword v7, off, s[0:3], s32 offset:100 ; 4-byte Folded Spill
	buffer_store_dword v8, off, s[0:3], s32 offset:104 ; 4-byte Folded Spill
	;; [unrolled: 1-line block ×4, first 2 shown]
	s_nop 0
	buffer_store_dword v42, off, s[0:3], s32 offset:128 ; 4-byte Folded Spill
	s_branch .LBB2_21
.LBB2_20:                               ;   in Loop: Header=BB2_21 Depth=1
	s_or_b64 exec, exec, s[16:17]
	v_add_co_u32_e32 v36, vcc, 1, v36
	v_addc_co_u32_e32 v37, vcc, 0, v37, vcc
	s_waitcnt vmcnt(0)
	v_add_co_u32_e32 v58, vcc, v58, v41
	v_addc_co_u32_e32 v59, vcc, 0, v59, vcc
	v_add_co_u32_e32 v60, vcc, v60, v41
	v_addc_co_u32_e32 v61, vcc, 0, v61, vcc
	v_cmp_ge_u64_e32 vcc, v[58:59], v[34:35]
	s_or_b64 s[28:29], vcc, s[28:29]
	s_andn2_b64 exec, exec, s[28:29]
	s_cbranch_execz .LBB2_209
.LBB2_21:                               ; =>This Loop Header: Depth=1
                                        ;     Child Loop BB2_26 Depth 2
                                        ;     Child Loop BB2_45 Depth 2
	;; [unrolled: 1-line block ×5, first 2 shown]
                                        ;       Child Loop BB2_75 Depth 3
                                        ;       Child Loop BB2_94 Depth 3
	;; [unrolled: 1-line block ×3, first 2 shown]
                                        ;         Child Loop BB2_118 Depth 4
                                        ;       Child Loop BB2_132 Depth 3
                                        ;       Child Loop BB2_141 Depth 3
                                        ;     Child Loop BB2_153 Depth 2
                                        ;       Child Loop BB2_161 Depth 3
                                        ;     Child Loop BB2_195 Depth 2
	s_waitcnt lgkmcnt(0)
	buffer_load_dword v0, off, s[0:3], s32 offset:132 ; 4-byte Folded Reload
	buffer_load_dword v1, off, s[0:3], s32 offset:136 ; 4-byte Folded Reload
	s_waitcnt vmcnt(0)
	flat_load_dword v17, v[0:1]
	v_sub_co_u32_e32 v0, vcc, v34, v58
	v_subb_co_u32_e32 v1, vcc, v35, v59, vcc
	v_cmp_lt_u64_e32 vcc, v[41:42], v[0:1]
	v_cndmask_b32_e32 v0, v0, v41, vcc
	v_lshl_add_u32 v1, v0, 1, 14
	v_and_b32_e32 v1, 0x7fffff0, v1
	buffer_store_dword v1, off, s[0:3], s32 offset:80 ; 4-byte Folded Spill
	s_and_saveexec_b64 s[18:19], s[6:7]
	s_cbranch_execz .LBB2_37
; %bb.22:                               ;   in Loop: Header=BB2_21 Depth=1
	v_add_co_u32_e32 v11, vcc, 1, v15
	v_addc_co_u32_e32 v12, vcc, 0, v16, vcc
	v_add_co_u32_e32 v8, vcc, 8, v54
	v_addc_co_u32_e32 v9, vcc, 0, v55, vcc
	v_cmp_lt_u64_e32 vcc, v[8:9], v[11:12]
	s_and_saveexec_b64 s[46:47], vcc
	s_cbranch_execz .LBB2_34
; %bb.23:                               ;   in Loop: Header=BB2_21 Depth=1
	s_mov_b32 s26, 0
	v_cmp_eq_u32_e32 vcc, 0, v47
	s_mov_b64 s[56:57], 0
                                        ; implicit-def: $sgpr58_sgpr59
                                        ; implicit-def: $sgpr60_sgpr61
                                        ; implicit-def: $sgpr62_sgpr63
	s_branch .LBB2_26
.LBB2_24:                               ;   in Loop: Header=BB2_26 Depth=2
	s_or_b64 exec, exec, s[88:89]
	s_andn2_b64 s[16:17], s[62:63], exec
	s_and_b64 s[62:63], s[76:77], exec
	s_or_b64 s[62:63], s[16:17], s[62:63]
	s_andn2_b64 s[16:17], s[60:61], exec
	s_and_b64 s[60:61], s[74:75], exec
	s_or_b64 s[60:61], s[16:17], s[60:61]
.LBB2_25:                               ;   in Loop: Header=BB2_26 Depth=2
	s_or_b64 exec, exec, s[72:73]
	s_and_b64 s[16:17], exec, s[60:61]
	s_or_b64 s[56:57], s[16:17], s[56:57]
	s_andn2_b64 s[16:17], s[58:59], exec
	s_and_b64 s[58:59], s[62:63], exec
	s_or_b64 s[58:59], s[16:17], s[58:59]
	s_andn2_b64 exec, exec, s[56:57]
	s_cbranch_execz .LBB2_31
.LBB2_26:                               ;   Parent Loop BB2_21 Depth=1
                                        ; =>  This Inner Loop Header: Depth=2
	s_sleep 1
	s_waitcnt vmcnt(0) lgkmcnt(0)
	flat_load_dwordx2 v[54:55], v[52:53] glc
	v_mov_b32_e32 v47, 1
	s_or_b64 s[62:63], s[62:63], exec
	s_or_b64 s[60:61], s[60:61], exec
                                        ; implicit-def: $vgpr1
	s_and_saveexec_b64 s[72:73], vcc
	s_cbranch_execz .LBB2_25
; %bb.27:                               ;   in Loop: Header=BB2_26 Depth=2
	s_add_i32 s26, s26, 1
	s_cmpk_lg_i32 s26, 0x2710
	s_cselect_b64 s[78:79], -1, 0
	s_cmpk_eq_i32 s26, 0x2710
	s_mov_b64 s[74:75], -1
	s_mov_b64 s[76:77], -1
                                        ; implicit-def: $vgpr1
	s_cbranch_scc1 .LBB2_29
; %bb.28:                               ;   in Loop: Header=BB2_26 Depth=2
	v_mov_b32_e32 v47, 1
	s_and_saveexec_b64 s[88:89], s[78:79]
	s_cbranch_execz .LBB2_24
	s_branch .LBB2_30
.LBB2_29:                               ;   in Loop: Header=BB2_26 Depth=2
	s_trap 2
	ds_read_b64 v[8:9], v0
	s_andn2_b64 s[78:79], s[78:79], exec
	s_mov_b32 s26, 0
	s_mov_b64 s[76:77], 0
	s_waitcnt vmcnt(0) lgkmcnt(0)
	flat_load_dword v1, v[8:9] glc
	s_waitcnt vmcnt(0) lgkmcnt(0)
	buffer_wbinvl1_vol
	v_cmp_eq_u32_e64 s[16:17], 0, v1
	s_and_b64 s[16:17], s[16:17], exec
	s_or_b64 s[78:79], s[78:79], s[16:17]
	v_mov_b32_e32 v47, 1
	s_and_saveexec_b64 s[88:89], s[78:79]
	s_cbranch_execz .LBB2_24
.LBB2_30:                               ;   in Loop: Header=BB2_26 Depth=2
	s_waitcnt vmcnt(0) lgkmcnt(0)
	v_add_co_u32_e64 v8, s[16:17], 8, v54
	v_addc_co_u32_e64 v9, s[16:17], 0, v55, s[16:17]
	v_cmp_ge_u64_e64 s[16:17], v[8:9], v[11:12]
	v_mov_b32_e32 v47, 0
	s_or_b64 s[76:77], s[76:77], exec
	s_orn2_b64 s[74:75], s[16:17], exec
	s_branch .LBB2_24
.LBB2_31:                               ;   in Loop: Header=BB2_21 Depth=1
	s_or_b64 exec, exec, s[56:57]
	s_xor_b64 s[16:17], s[58:59], -1
	s_and_saveexec_b64 s[56:57], s[16:17]
	s_xor_b64 s[16:17], exec, s[56:57]
	s_cbranch_execz .LBB2_33
; %bb.32:                               ;   in Loop: Header=BB2_21 Depth=1
	v_mov_b32_e32 v47, 1
	s_waitcnt lgkmcnt(0)
	ds_write_b32 v0, v1
	s_trap 2
.LBB2_33:                               ;   in Loop: Header=BB2_21 Depth=1
	s_or_b64 exec, exec, s[16:17]
.LBB2_34:                               ;   in Loop: Header=BB2_21 Depth=1
	s_or_b64 exec, exec, s[46:47]
	s_and_saveexec_b64 s[16:17], s[8:9]
	s_cbranch_execz .LBB2_36
; %bb.35:                               ;   in Loop: Header=BB2_21 Depth=1
	v_and_b32_e32 v1, 0x7ffffff8, v15
	v_cmp_eq_u64_e32 vcc, s[44:45], v[1:2]
	buffer_load_dword v1, off, s[0:3], s32 offset:80 ; 4-byte Folded Reload
	v_and_b32_e32 v8, 7, v15
	v_mad_u64_u32 v[8:9], s[46:47], v8, 24, v[13:14]
	v_mov_b32_e32 v10, s21
	s_waitcnt vmcnt(0)
	v_cndmask_b32_e32 v15, v1, v10, vcc
	v_ashrrev_i32_e32 v16, 31, v15
	flat_store_dwordx2 v[8:9], v[15:16] offset:8
	s_waitcnt vmcnt(0)
.LBB2_36:                               ;   in Loop: Header=BB2_21 Depth=1
	s_or_b64 exec, exec, s[16:17]
	v_mov_b32_e32 v16, v12
	v_mov_b32_e32 v15, v11
.LBB2_37:                               ;   in Loop: Header=BB2_21 Depth=1
	s_or_b64 exec, exec, s[18:19]
	s_and_saveexec_b64 s[16:17], s[10:11]
	s_cbranch_execz .LBB2_56
; %bb.38:                               ;   in Loop: Header=BB2_21 Depth=1
	s_and_saveexec_b64 s[18:19], s[40:41]
	s_xor_b64 s[18:19], exec, s[18:19]
	s_cbranch_execz .LBB2_53
; %bb.39:                               ;   in Loop: Header=BB2_21 Depth=1
	s_and_saveexec_b64 s[46:47], s[12:13]
	s_cbranch_execz .LBB2_52
; %bb.40:                               ;   in Loop: Header=BB2_21 Depth=1
	s_mov_b64 s[58:59], exec
	v_mbcnt_lo_u32_b32 v1, s58, 0
	v_mbcnt_hi_u32_b32 v1, s59, v1
	v_cmp_eq_u32_e32 vcc, 0, v1
	s_waitcnt vmcnt(0) lgkmcnt(0)
	buffer_wbinvl1_vol
	s_and_saveexec_b64 s[56:57], vcc
	s_cbranch_execz .LBB2_42
; %bb.41:                               ;   in Loop: Header=BB2_21 Depth=1
	s_bcnt1_i32_b64 s26, s[58:59]
	v_mov_b32_e32 v1, s26
	ds_add_u64 v0, v[1:2]
	s_trap 2
.LBB2_42:                               ;   in Loop: Header=BB2_21 Depth=1
	s_or_b64 exec, exec, s[56:57]
	s_trap 2
	ds_read_b64 v[8:9], v0
	s_waitcnt lgkmcnt(0)
	buffer_load_dword v1, off, s[0:3], s32 offset:84 ; 4-byte Folded Reload
	s_waitcnt vmcnt(0)
	v_add_co_u32_e32 v44, vcc, v44, v1
	v_addc_co_u32_e32 v45, vcc, 0, v45, vcc
	v_cmp_lt_u64_e32 vcc, v[8:9], v[44:45]
	s_and_saveexec_b64 s[56:57], vcc
	s_cbranch_execz .LBB2_51
; %bb.43:                               ;   in Loop: Header=BB2_21 Depth=1
	s_mov_b32 s26, 0
	s_mov_b64 s[58:59], 0
                                        ; implicit-def: $sgpr60_sgpr61
                                        ; implicit-def: $sgpr62_sgpr63
	s_branch .LBB2_45
.LBB2_44:                               ;   in Loop: Header=BB2_45 Depth=2
	s_or_b64 exec, exec, s[74:75]
	s_and_b64 s[72:73], exec, s[76:77]
	s_or_b64 s[58:59], s[72:73], s[58:59]
	s_andn2_b64 s[60:61], s[60:61], exec
	s_and_b64 s[72:73], s[62:63], exec
	s_or_b64 s[60:61], s[60:61], s[72:73]
	s_andn2_b64 exec, exec, s[58:59]
	s_cbranch_execz .LBB2_49
.LBB2_45:                               ;   Parent Loop BB2_21 Depth=1
                                        ; =>  This Inner Loop Header: Depth=2
	s_add_i32 s26, s26, 1
	s_cmpk_lg_i32 s26, 0x2710
	s_cselect_b64 s[72:73], -1, 0
	s_and_b64 vcc, exec, s[72:73]
	s_cbranch_vccz .LBB2_47
; %bb.46:                               ;   in Loop: Header=BB2_45 Depth=2
	s_mov_b64 s[76:77], -1
	s_or_b64 s[62:63], s[62:63], exec
	s_and_saveexec_b64 s[74:75], s[72:73]
	s_cbranch_execz .LBB2_44
	s_branch .LBB2_48
.LBB2_47:                               ;   in Loop: Header=BB2_45 Depth=2
	s_trap 2
	ds_read_b64 v[8:9], v0
	s_andn2_b64 s[72:73], s[72:73], exec
	s_mov_b32 s26, 0
	s_waitcnt lgkmcnt(0)
	flat_load_dword v1, v[8:9] glc
	s_waitcnt vmcnt(0) lgkmcnt(0)
	buffer_wbinvl1_vol
	v_cmp_eq_u32_e32 vcc, 0, v1
	s_and_b64 s[74:75], vcc, exec
	s_or_b64 s[72:73], s[72:73], s[74:75]
	s_mov_b64 s[76:77], -1
	s_or_b64 s[62:63], s[62:63], exec
	s_and_saveexec_b64 s[74:75], s[72:73]
	s_cbranch_execz .LBB2_44
.LBB2_48:                               ;   in Loop: Header=BB2_45 Depth=2
	s_sleep 1
	s_trap 2
	ds_read_b64 v[8:9], v0
	s_waitcnt lgkmcnt(0)
	s_andn2_b64 s[62:63], s[62:63], exec
	v_cmp_ge_u64_e32 vcc, v[8:9], v[44:45]
	s_orn2_b64 s[76:77], vcc, exec
	s_branch .LBB2_44
.LBB2_49:                               ;   in Loop: Header=BB2_21 Depth=1
	s_or_b64 exec, exec, s[58:59]
	s_and_saveexec_b64 s[58:59], s[60:61]
	s_xor_b64 s[58:59], exec, s[58:59]
	s_cbranch_execz .LBB2_51
; %bb.50:                               ;   in Loop: Header=BB2_21 Depth=1
	v_mov_b32_e32 v1, 1
	ds_write_b32 v0, v1
	s_trap 2
.LBB2_51:                               ;   in Loop: Header=BB2_21 Depth=1
	s_or_b64 exec, exec, s[56:57]
	;;#ASMSTART
	s_wakeup
	;;#ASMEND
.LBB2_52:                               ;   in Loop: Header=BB2_21 Depth=1
	s_or_b64 exec, exec, s[46:47]
.LBB2_53:                               ;   in Loop: Header=BB2_21 Depth=1
	s_andn2_saveexec_b64 s[18:19], s[18:19]
	s_cbranch_execz .LBB2_55
; %bb.54:                               ;   in Loop: Header=BB2_21 Depth=1
	s_waitcnt vmcnt(0) lgkmcnt(0)
	buffer_wbinvl1_vol
	s_barrier
.LBB2_55:                               ;   in Loop: Header=BB2_21 Depth=1
	s_or_b64 exec, exec, s[18:19]
.LBB2_56:                               ;   in Loop: Header=BB2_21 Depth=1
	s_or_b64 exec, exec, s[16:17]
	buffer_load_dword v1, off, s[0:3], s32 offset:112 ; 4-byte Folded Reload
	v_and_b32_e32 v8, 7, v21
	v_add_u32_e32 v18, 1, v21
	s_waitcnt vmcnt(0)
	v_sub_u32_e32 v62, v0, v1
	v_cmp_lt_i32_e64 s[16:17], 0, v62
	v_mov_b32_e32 v0, v4
	s_and_saveexec_b64 s[18:19], s[16:17]
	s_cbranch_execz .LBB2_64
; %bb.57:                               ;   in Loop: Header=BB2_21 Depth=1
	buffer_load_dword v9, off, s[0:3], s32 offset:60 ; 4-byte Folded Reload
	s_waitcnt lgkmcnt(0)
	v_ashrrev_i32_e32 v1, 31, v17
	v_mad_u64_u32 v[11:12], s[46:47], v3, v17, v[60:61]
	v_mul_lo_u32 v10, v3, v1
	v_mul_lo_u32 v0, v8, s92
	s_mov_b64 s[46:47], 0
	v_ashrrev_i32_e32 v1, 31, v0
	v_lshlrev_b64 v[0:1], 4, v[0:1]
	s_waitcnt vmcnt(0)
	v_mul_lo_u32 v9, v9, v17
	v_mul_lo_u32 v17, v3, v17
	v_add3_u32 v12, v9, v12, v10
	buffer_load_dword v10, off, s[0:3], s32 offset:180 ; 4-byte Folded Reload
	v_add_lshl_u32 v9, v60, v17, 3
	s_waitcnt vmcnt(0)
	v_add_co_u32_e32 v32, vcc, v10, v0
	buffer_load_dword v0, off, s[0:3], s32 offset:184 ; 4-byte Folded Reload
	v_mov_b32_e32 v10, v62
	s_waitcnt vmcnt(0)
	v_addc_co_u32_e32 v33, vcc, v0, v1, vcc
	v_mov_b32_e32 v0, v4
	s_branch .LBB2_59
.LBB2_58:                               ;   in Loop: Header=BB2_59 Depth=2
	s_or_b64 exec, exec, s[56:57]
	s_waitcnt vmcnt(0)
	v_alignbit_b32 v1, v26, v17, v9
	v_alignbit_b32 v19, v25, v26, v9
	v_lshrrev_b32_e32 v25, 16, v1
	v_lshrrev_b32_e32 v17, 8, v1
	v_mul_lo_u32 v20, v27, v1
	v_lshrrev_b32_e32 v1, 24, v1
	v_mul_lo_u32 v25, v57, v25
	v_mul_lo_u32 v17, v46, v17
	v_lshrrev_b32_e32 v26, 8, v19
	v_mul_lo_u32 v1, v56, v1
	v_mul_lo_u32 v30, v27, v19
	v_lshrrev_b32_e32 v31, 24, v19
	v_lshrrev_b32_e32 v19, 16, v19
	v_mul_lo_u32 v19, v57, v19
	v_mul_lo_u32 v26, v46, v26
	;; [unrolled: 1-line block ×3, first 2 shown]
	v_perm_b32 v20, v25, v20, s94
	v_and_b32_e32 v17, 0xff00, v17
	v_and_or_b32 v1, v1, s95, v20
	v_or3_b32 v17, v1, v17, 0
	v_perm_b32 v1, v19, v30, s94
	v_add_co_u32_e32 v11, vcc, v11, v7
	v_and_b32_e32 v26, 0xff00, v26
	v_and_or_b32 v1, v31, s95, v1
	v_sub_u32_e32 v10, v10, v7
	v_addc_co_u32_e32 v12, vcc, 0, v12, vcc
	v_or3_b32 v19, v1, v26, 0
	v_mov_b32_e32 v20, v18
	v_cmp_gt_i32_e32 vcc, 1, v10
	global_store_dwordx4 v[32:33], v[17:20], off
	s_or_b64 s[46:47], vcc, s[46:47]
	v_add_co_u32_e32 v32, vcc, v32, v5
	v_add_u32_e32 v0, v0, v29
	v_add_u32_e32 v9, v9, v28
	v_addc_co_u32_e32 v33, vcc, v33, v6, vcc
	s_andn2_b64 exec, exec, s[46:47]
	s_cbranch_execz .LBB2_63
.LBB2_59:                               ;   Parent Loop BB2_21 Depth=1
                                        ; =>  This Inner Loop Header: Depth=2
	v_and_b32_e32 v19, -4, v11
	v_mov_b32_e32 v20, v12
	global_load_dword v17, v[19:20], off glc slc
	v_min_u32_e32 v1, 8, v10
	v_and_b32_e32 v25, 3, v11
	v_add_u32_e32 v1, v25, v1
	v_cmp_lt_u32_e32 vcc, 4, v1
	v_mov_b32_e32 v25, 0
	v_mov_b32_e32 v26, 0
	s_and_saveexec_b64 s[56:57], vcc
	s_cbranch_execz .LBB2_61
; %bb.60:                               ;   in Loop: Header=BB2_59 Depth=2
	global_load_dword v26, v[19:20], off offset:4 glc slc
.LBB2_61:                               ;   in Loop: Header=BB2_59 Depth=2
	s_or_b64 exec, exec, s[56:57]
	v_cmp_lt_u64_e32 vcc, 8, v[1:2]
	s_and_saveexec_b64 s[56:57], vcc
	s_cbranch_execz .LBB2_58
; %bb.62:                               ;   in Loop: Header=BB2_59 Depth=2
	global_load_dword v25, v[19:20], off offset:8 glc slc
	s_branch .LBB2_58
.LBB2_63:                               ;   in Loop: Header=BB2_21 Depth=1
	s_or_b64 exec, exec, s[46:47]
	buffer_load_dword v32, off, s[0:3], s32 offset:96 ; 4-byte Folded Reload
	buffer_load_dword v33, off, s[0:3], s32 offset:100 ; 4-byte Folded Reload
	;; [unrolled: 1-line block ×4, first 2 shown]
.LBB2_64:                               ;   in Loop: Header=BB2_21 Depth=1
	s_or_b64 exec, exec, s[18:19]
	v_and_b32_e32 v1, 0x7ffffff8, v21
	v_cmp_eq_u64_e32 vcc, s[44:45], v[1:2]
	v_cmp_gt_i32_e64 s[18:19], s92, v0
	s_and_b64 s[18:19], vcc, s[18:19]
	s_and_saveexec_b64 s[46:47], s[18:19]
	s_cbranch_execz .LBB2_67
; %bb.65:                               ;   in Loop: Header=BB2_21 Depth=1
	v_mul_lo_u32 v8, v8, s92
	v_ashrrev_i32_e32 v1, 31, v0
	v_lshlrev_b64 v[10:11], 4, v[0:1]
	s_waitcnt lgkmcnt(0)
	v_mov_b32_e32 v17, v2
	v_ashrrev_i32_e32 v9, 31, v8
	v_lshlrev_b64 v[8:9], 4, v[8:9]
	s_mov_b64 s[56:57], 0
	v_add_co_u32_e32 v1, vcc, v10, v8
	v_addc_co_u32_e32 v8, vcc, v11, v9, vcc
	v_add_co_u32_e32 v11, vcc, v38, v1
	v_addc_co_u32_e32 v12, vcc, v39, v8, vcc
.LBB2_66:                               ;   Parent Loop BB2_21 Depth=1
                                        ; =>  This Inner Loop Header: Depth=2
	v_mov_b32_e32 v19, v17
	v_mov_b32_e32 v20, v18
	v_add_u32_e32 v0, v0, v29
	global_store_dwordx4 v[11:12], v[17:20], off
	v_add_co_u32_e32 v11, vcc, v11, v5
	v_cmp_le_i32_e64 s[18:19], s92, v0
	s_or_b64 s[56:57], s[18:19], s[56:57]
	v_addc_co_u32_e32 v12, vcc, v12, v6, vcc
	s_andn2_b64 exec, exec, s[56:57]
	s_cbranch_execnz .LBB2_66
.LBB2_67:                               ;   in Loop: Header=BB2_21 Depth=1
	s_or_b64 exec, exec, s[46:47]
	buffer_store_dword v60, off, s[0:3], s32 offset:88 ; 4-byte Folded Spill
	s_nop 0
	buffer_store_dword v61, off, s[0:3], s32 offset:92 ; 4-byte Folded Spill
	buffer_load_dword v0, off, s[0:3], s32 offset:116 ; 4-byte Folded Reload
	buffer_load_dword v1, off, s[0:3], s32 offset:120 ; 4-byte Folded Reload
	v_add_co_u32_e64 v60, s[18:19], 1, v21
	v_addc_co_u32_e64 v61, s[18:19], 0, v22, s[18:19]
	s_waitcnt vmcnt(0)
	v_add_co_u32_e32 v12, vcc, v58, v0
	v_addc_co_u32_e32 v30, vcc, v59, v1, vcc
	s_andn2_b64 vcc, exec, s[42:43]
	s_cbranch_vccnz .LBB2_150
; %bb.68:                               ;   in Loop: Header=BB2_21 Depth=1
	buffer_load_dword v0, off, s[0:3], s32 offset:164 ; 4-byte Folded Reload
	v_add_u16_e32 v31, 1, v21
	s_mov_b32 s35, 2
	buffer_store_dword v12, off, s[0:3], s32 offset:140 ; 4-byte Folded Spill
	buffer_store_dword v30, off, s[0:3], s32 offset:144 ; 4-byte Folded Spill
	s_waitcnt vmcnt(0)
	v_add_co_u32_e32 v32, vcc, v0, v12
	buffer_load_dword v0, off, s[0:3], s32 offset:168 ; 4-byte Folded Reload
	s_waitcnt vmcnt(0)
	v_addc_co_u32_e32 v33, vcc, v0, v30, vcc
	s_branch .LBB2_70
.LBB2_69:                               ;   in Loop: Header=BB2_70 Depth=2
	s_or_b64 exec, exec, s[46:47]
	v_add_co_u32_e32 v36, vcc, 1, v36
	v_addc_co_u32_e32 v37, vcc, 0, v37, vcc
	s_add_i32 s35, s35, 1
	v_add_co_u32_e32 v60, vcc, 1, v60
	v_addc_co_u32_e32 v61, vcc, 0, v61, vcc
	s_cmp_eq_u32 s35, s20
	v_add_u16_e32 v31, 1, v31
	s_cbranch_scc1 .LBB2_149
.LBB2_70:                               ;   Parent Loop BB2_21 Depth=1
                                        ; =>  This Loop Header: Depth=2
                                        ;       Child Loop BB2_75 Depth 3
                                        ;       Child Loop BB2_94 Depth 3
	;; [unrolled: 1-line block ×3, first 2 shown]
                                        ;         Child Loop BB2_118 Depth 4
                                        ;       Child Loop BB2_132 Depth 3
                                        ;       Child Loop BB2_141 Depth 3
	s_sub_i32 s26, s20, s35
	s_lshl_b64 s[18:19], s[26:27], 2
	v_mov_b32_e32 v1, s19
	s_waitcnt vmcnt(0) lgkmcnt(0)
	v_add_co_u32_e32 v0, vcc, s18, v23
	v_addc_co_u32_e32 v1, vcc, v24, v1, vcc
	flat_load_dword v0, v[0:1]
	s_and_saveexec_b64 s[46:47], s[6:7]
	s_cbranch_execz .LBB2_86
; %bb.71:                               ;   in Loop: Header=BB2_70 Depth=2
	v_add_co_u32_e32 v11, vcc, 1, v15
	v_addc_co_u32_e32 v12, vcc, 0, v16, vcc
	s_waitcnt lgkmcnt(0)
	v_add_co_u32_e32 v8, vcc, 8, v54
	v_addc_co_u32_e32 v9, vcc, 0, v55, vcc
	v_cmp_lt_u64_e32 vcc, v[8:9], v[11:12]
	s_and_saveexec_b64 s[56:57], vcc
	s_cbranch_execz .LBB2_83
; %bb.72:                               ;   in Loop: Header=BB2_70 Depth=2
	s_mov_b32 s26, 0
	v_cmp_eq_u32_e32 vcc, 0, v47
	s_mov_b64 s[58:59], 0
                                        ; implicit-def: $sgpr60_sgpr61
                                        ; implicit-def: $sgpr62_sgpr63
                                        ; implicit-def: $sgpr72_sgpr73
	s_branch .LBB2_75
.LBB2_73:                               ;   in Loop: Header=BB2_75 Depth=3
	s_or_b64 exec, exec, s[90:91]
	s_andn2_b64 s[18:19], s[72:73], exec
	s_and_b64 s[72:73], s[78:79], exec
	s_or_b64 s[72:73], s[18:19], s[72:73]
	s_andn2_b64 s[18:19], s[62:63], exec
	s_and_b64 s[62:63], s[76:77], exec
	s_or_b64 s[62:63], s[18:19], s[62:63]
.LBB2_74:                               ;   in Loop: Header=BB2_75 Depth=3
	s_or_b64 exec, exec, s[74:75]
	s_and_b64 s[18:19], exec, s[62:63]
	s_or_b64 s[58:59], s[18:19], s[58:59]
	s_andn2_b64 s[18:19], s[60:61], exec
	s_and_b64 s[60:61], s[72:73], exec
	s_or_b64 s[60:61], s[18:19], s[60:61]
	s_andn2_b64 exec, exec, s[58:59]
	s_cbranch_execz .LBB2_80
.LBB2_75:                               ;   Parent Loop BB2_21 Depth=1
                                        ;     Parent Loop BB2_70 Depth=2
                                        ; =>    This Inner Loop Header: Depth=3
	s_sleep 1
	s_waitcnt vmcnt(0) lgkmcnt(0)
	flat_load_dwordx2 v[54:55], v[52:53] glc
	v_mov_b32_e32 v47, 1
	s_or_b64 s[72:73], s[72:73], exec
	s_or_b64 s[62:63], s[62:63], exec
                                        ; implicit-def: $vgpr1
	s_and_saveexec_b64 s[74:75], vcc
	s_cbranch_execz .LBB2_74
; %bb.76:                               ;   in Loop: Header=BB2_75 Depth=3
	s_add_i32 s26, s26, 1
	s_cmpk_lg_i32 s26, 0x2710
	s_cselect_b64 s[88:89], -1, 0
	s_cmpk_eq_i32 s26, 0x2710
	s_mov_b64 s[76:77], -1
	s_mov_b64 s[78:79], -1
                                        ; implicit-def: $vgpr1
	s_cbranch_scc1 .LBB2_78
; %bb.77:                               ;   in Loop: Header=BB2_75 Depth=3
	v_mov_b32_e32 v47, 1
	s_and_saveexec_b64 s[90:91], s[88:89]
	s_cbranch_execz .LBB2_73
	s_branch .LBB2_79
.LBB2_78:                               ;   in Loop: Header=BB2_75 Depth=3
	s_trap 2
	s_waitcnt vmcnt(0)
	ds_read_b64 v[8:9], v0
	s_andn2_b64 s[88:89], s[88:89], exec
	s_mov_b32 s26, 0
	s_mov_b64 s[78:79], 0
	s_waitcnt lgkmcnt(0)
	flat_load_dword v1, v[8:9] glc
	s_waitcnt vmcnt(0) lgkmcnt(0)
	buffer_wbinvl1_vol
	v_cmp_eq_u32_e64 s[18:19], 0, v1
	s_and_b64 s[18:19], s[18:19], exec
	s_or_b64 s[88:89], s[88:89], s[18:19]
	v_mov_b32_e32 v47, 1
	s_and_saveexec_b64 s[90:91], s[88:89]
	s_cbranch_execz .LBB2_73
.LBB2_79:                               ;   in Loop: Header=BB2_75 Depth=3
	s_waitcnt vmcnt(0) lgkmcnt(0)
	v_add_co_u32_e64 v8, s[18:19], 8, v54
	v_addc_co_u32_e64 v9, s[18:19], 0, v55, s[18:19]
	v_cmp_ge_u64_e64 s[18:19], v[8:9], v[11:12]
	v_mov_b32_e32 v47, 0
	s_or_b64 s[78:79], s[78:79], exec
	s_orn2_b64 s[76:77], s[18:19], exec
	s_branch .LBB2_73
.LBB2_80:                               ;   in Loop: Header=BB2_70 Depth=2
	s_or_b64 exec, exec, s[58:59]
	s_xor_b64 s[18:19], s[60:61], -1
	s_and_saveexec_b64 s[58:59], s[18:19]
	s_xor_b64 s[18:19], exec, s[58:59]
	s_cbranch_execz .LBB2_82
; %bb.81:                               ;   in Loop: Header=BB2_70 Depth=2
	v_mov_b32_e32 v47, 1
	s_waitcnt vmcnt(0) lgkmcnt(0)
	ds_write_b32 v0, v1
	s_trap 2
.LBB2_82:                               ;   in Loop: Header=BB2_70 Depth=2
	s_or_b64 exec, exec, s[18:19]
.LBB2_83:                               ;   in Loop: Header=BB2_70 Depth=2
	s_or_b64 exec, exec, s[56:57]
	s_and_saveexec_b64 s[18:19], s[8:9]
	s_cbranch_execz .LBB2_85
; %bb.84:                               ;   in Loop: Header=BB2_70 Depth=2
	v_and_b32_e32 v1, 0x7ffffff8, v15
	v_cmp_eq_u64_e32 vcc, s[44:45], v[1:2]
	buffer_load_dword v1, off, s[0:3], s32 offset:80 ; 4-byte Folded Reload
	v_and_b32_e32 v8, 7, v15
	v_mad_u64_u32 v[8:9], s[56:57], v8, 24, v[13:14]
	v_mov_b32_e32 v10, s21
	s_waitcnt vmcnt(0)
	v_cndmask_b32_e32 v15, v1, v10, vcc
	v_ashrrev_i32_e32 v16, 31, v15
	flat_store_dwordx2 v[8:9], v[15:16] offset:8
	s_waitcnt vmcnt(0)
.LBB2_85:                               ;   in Loop: Header=BB2_70 Depth=2
	s_or_b64 exec, exec, s[18:19]
	v_mov_b32_e32 v16, v12
	v_mov_b32_e32 v15, v11
.LBB2_86:                               ;   in Loop: Header=BB2_70 Depth=2
	s_or_b64 exec, exec, s[46:47]
	s_and_saveexec_b64 s[18:19], s[10:11]
	s_cbranch_execz .LBB2_105
; %bb.87:                               ;   in Loop: Header=BB2_70 Depth=2
	s_and_saveexec_b64 s[46:47], s[40:41]
	s_xor_b64 s[46:47], exec, s[46:47]
	s_cbranch_execz .LBB2_102
; %bb.88:                               ;   in Loop: Header=BB2_70 Depth=2
	s_and_saveexec_b64 s[56:57], s[12:13]
	s_cbranch_execz .LBB2_101
; %bb.89:                               ;   in Loop: Header=BB2_70 Depth=2
	s_mov_b64 s[60:61], exec
	v_mbcnt_lo_u32_b32 v1, s60, 0
	v_mbcnt_hi_u32_b32 v1, s61, v1
	v_cmp_eq_u32_e32 vcc, 0, v1
	s_waitcnt vmcnt(0) lgkmcnt(0)
	buffer_wbinvl1_vol
	s_and_saveexec_b64 s[58:59], vcc
	s_cbranch_execz .LBB2_91
; %bb.90:                               ;   in Loop: Header=BB2_70 Depth=2
	s_bcnt1_i32_b64 s26, s[60:61]
	v_mov_b32_e32 v1, s26
	ds_add_u64 v0, v[1:2]
	s_trap 2
.LBB2_91:                               ;   in Loop: Header=BB2_70 Depth=2
	s_or_b64 exec, exec, s[58:59]
	s_trap 2
	ds_read_b64 v[8:9], v0
	s_waitcnt lgkmcnt(0)
	buffer_load_dword v1, off, s[0:3], s32 offset:84 ; 4-byte Folded Reload
	s_waitcnt vmcnt(0)
	v_add_co_u32_e32 v44, vcc, v44, v1
	v_addc_co_u32_e32 v45, vcc, 0, v45, vcc
	v_cmp_lt_u64_e32 vcc, v[8:9], v[44:45]
	s_and_saveexec_b64 s[58:59], vcc
	s_cbranch_execz .LBB2_100
; %bb.92:                               ;   in Loop: Header=BB2_70 Depth=2
	s_mov_b32 s26, 0
	s_mov_b64 s[60:61], 0
                                        ; implicit-def: $sgpr62_sgpr63
                                        ; implicit-def: $sgpr72_sgpr73
	s_branch .LBB2_94
.LBB2_93:                               ;   in Loop: Header=BB2_94 Depth=3
	s_or_b64 exec, exec, s[76:77]
	s_and_b64 s[74:75], exec, s[78:79]
	s_or_b64 s[60:61], s[74:75], s[60:61]
	s_andn2_b64 s[62:63], s[62:63], exec
	s_and_b64 s[74:75], s[72:73], exec
	s_or_b64 s[62:63], s[62:63], s[74:75]
	s_andn2_b64 exec, exec, s[60:61]
	s_cbranch_execz .LBB2_98
.LBB2_94:                               ;   Parent Loop BB2_21 Depth=1
                                        ;     Parent Loop BB2_70 Depth=2
                                        ; =>    This Inner Loop Header: Depth=3
	s_add_i32 s26, s26, 1
	s_cmpk_lg_i32 s26, 0x2710
	s_cselect_b64 s[74:75], -1, 0
	s_and_b64 vcc, exec, s[74:75]
	s_cbranch_vccz .LBB2_96
; %bb.95:                               ;   in Loop: Header=BB2_94 Depth=3
	s_mov_b64 s[78:79], -1
	s_or_b64 s[72:73], s[72:73], exec
	s_and_saveexec_b64 s[76:77], s[74:75]
	s_cbranch_execz .LBB2_93
	s_branch .LBB2_97
.LBB2_96:                               ;   in Loop: Header=BB2_94 Depth=3
	s_trap 2
	ds_read_b64 v[8:9], v0
	s_andn2_b64 s[74:75], s[74:75], exec
	s_mov_b32 s26, 0
	s_waitcnt lgkmcnt(0)
	flat_load_dword v1, v[8:9] glc
	s_waitcnt vmcnt(0) lgkmcnt(0)
	buffer_wbinvl1_vol
	v_cmp_eq_u32_e32 vcc, 0, v1
	s_and_b64 s[76:77], vcc, exec
	s_or_b64 s[74:75], s[74:75], s[76:77]
	s_mov_b64 s[78:79], -1
	s_or_b64 s[72:73], s[72:73], exec
	s_and_saveexec_b64 s[76:77], s[74:75]
	s_cbranch_execz .LBB2_93
.LBB2_97:                               ;   in Loop: Header=BB2_94 Depth=3
	s_sleep 1
	s_trap 2
	ds_read_b64 v[8:9], v0
	s_waitcnt lgkmcnt(0)
	s_andn2_b64 s[72:73], s[72:73], exec
	v_cmp_ge_u64_e32 vcc, v[8:9], v[44:45]
	s_orn2_b64 s[78:79], vcc, exec
	s_branch .LBB2_93
.LBB2_98:                               ;   in Loop: Header=BB2_70 Depth=2
	s_or_b64 exec, exec, s[60:61]
	s_and_saveexec_b64 s[60:61], s[62:63]
	s_xor_b64 s[60:61], exec, s[60:61]
	s_cbranch_execz .LBB2_100
; %bb.99:                               ;   in Loop: Header=BB2_70 Depth=2
	v_mov_b32_e32 v1, 1
	ds_write_b32 v0, v1
	s_trap 2
.LBB2_100:                              ;   in Loop: Header=BB2_70 Depth=2
	s_or_b64 exec, exec, s[58:59]
	;;#ASMSTART
	s_wakeup
	;;#ASMEND
.LBB2_101:                              ;   in Loop: Header=BB2_70 Depth=2
	s_or_b64 exec, exec, s[56:57]
.LBB2_102:                              ;   in Loop: Header=BB2_70 Depth=2
	s_andn2_saveexec_b64 s[46:47], s[46:47]
	s_cbranch_execz .LBB2_104
; %bb.103:                              ;   in Loop: Header=BB2_70 Depth=2
	s_waitcnt vmcnt(0) lgkmcnt(0)
	buffer_wbinvl1_vol
	s_barrier
.LBB2_104:                              ;   in Loop: Header=BB2_70 Depth=2
	s_or_b64 exec, exec, s[46:47]
.LBB2_105:                              ;   in Loop: Header=BB2_70 Depth=2
	s_or_b64 exec, exec, s[18:19]
	v_add_u32_e32 v18, 1, v60
	v_mov_b32_e32 v42, v4
	s_and_saveexec_b64 s[46:47], s[16:17]
	s_cbranch_execz .LBB2_124
; %bb.106:                              ;   in Loop: Header=BB2_70 Depth=2
	buffer_load_dword v8, off, s[0:3], s32 offset:60 ; 4-byte Folded Reload
	buffer_load_dword v9, off, s[0:3], s32 offset:72 ; 4-byte Folded Reload
	;; [unrolled: 1-line block ×3, first 2 shown]
	s_waitcnt vmcnt(0) lgkmcnt(0)
	v_ashrrev_i32_e32 v1, 31, v0
	v_mad_u64_u32 v[11:12], s[18:19], v3, v0, v[32:33]
	v_mul_lo_u32 v1, v3, v1
	v_add_u32_e32 v30, 1, v36
	s_mov_b64 s[56:57], 0
	v_mov_b32_e32 v42, v4
	v_mul_lo_u32 v8, v8, v0
	v_and_b32_e32 v0, 7, v36
	v_mul_lo_u32 v0, v0, s92
	v_add3_u32 v12, v8, v12, v1
	v_and_b32_e32 v8, 7, v60
	v_mul_lo_u32 v8, v8, s92
	v_ashrrev_i32_e32 v1, 31, v0
	v_lshlrev_b64 v[0:1], 4, v[0:1]
	v_add_co_u32_e32 v40, vcc, v9, v0
	v_ashrrev_i32_e32 v9, 31, v8
	v_addc_co_u32_e32 v41, vcc, v10, v1, vcc
	v_lshlrev_b64 v[0:1], 4, v[8:9]
	v_mov_b32_e32 v8, v62
	v_add_co_u32_e32 v50, vcc, v38, v0
	v_addc_co_u32_e32 v51, vcc, v39, v1, vcc
	s_branch .LBB2_110
.LBB2_107:                              ;   in Loop: Header=BB2_110 Depth=3
	s_or_b64 exec, exec, s[18:19]
.LBB2_108:                              ;   in Loop: Header=BB2_110 Depth=3
	s_or_b64 exec, exec, s[60:61]
.LBB2_109:                              ;   in Loop: Header=BB2_110 Depth=3
	s_or_b64 exec, exec, s[58:59]
	v_add_co_u32_e32 v25, vcc, v11, v7
	v_lshlrev_b32_e32 v11, 3, v11
	v_addc_co_u32_e32 v26, vcc, 0, v12, vcc
	s_waitcnt vmcnt(1)
	v_alignbit_b32 v12, v10, v17, v11
	v_alignbit_b32 v9, v9, v10, v11
	v_lshrrev_b32_e32 v10, 8, v12
	v_lshrrev_b32_e32 v11, 24, v12
	v_mul_lo_u32 v10, v46, v10
	v_mul_lo_u32 v11, v56, v11
	;; [unrolled: 1-line block ×3, first 2 shown]
	v_lshrrev_b32_e32 v12, 16, v12
	v_mul_lo_u32 v12, v57, v12
	v_and_or_b32 v10, v10, s93, v11
	v_lshrrev_b32_e32 v11, 8, v9
	s_waitcnt vmcnt(0)
	v_lshrrev_b32_e32 v20, 24, v9
	v_mul_lo_u32 v22, v27, v9
	v_lshrrev_b32_e32 v9, 16, v9
	v_mul_lo_u32 v9, v57, v9
	v_mul_lo_u32 v11, v46, v11
	;; [unrolled: 1-line block ×3, first 2 shown]
	v_and_or_b32 v12, v17, s30, v12
	v_and_b32_e32 v17, 0xff00ff00, v19
	v_add_u32_e32 v10, v10, v17
	v_and_b32_e32 v17, 0xff00ff, v21
	v_and_or_b32 v9, v22, s30, v9
	v_and_or_b32 v11, v11, s93, v20
	v_and_b32_e32 v20, 0xff00ff, v19
	v_add_u32_e32 v9, v9, v17
	v_and_b32_e32 v17, 0xff00ff00, v21
	v_add_co_u32_e32 v0, vcc, v50, v0
	v_add_u32_e32 v12, v12, v20
	v_add_u32_e32 v11, v11, v17
	v_addc_co_u32_e32 v1, vcc, v51, v1, vcc
	v_sub_u32_e32 v8, v8, v7
	v_perm_b32 v17, v10, v12, s31
	v_perm_b32 v19, v11, v9, s31
	v_cmp_gt_i32_e32 vcc, 1, v8
	v_mov_b32_e32 v11, v25
	v_mov_b32_e32 v20, v18
	v_add_u32_e32 v42, v42, v29
	s_or_b64 s[56:57], vcc, s[56:57]
	v_mov_b32_e32 v12, v26
	global_store_dwordx4 v[0:1], v[17:20], off
	s_andn2_b64 exec, exec, s[56:57]
	s_cbranch_execz .LBB2_136
.LBB2_110:                              ;   Parent Loop BB2_21 Depth=1
                                        ;     Parent Loop BB2_70 Depth=2
                                        ; =>    This Loop Header: Depth=3
                                        ;         Child Loop BB2_118 Depth 4
	v_and_b32_e32 v19, -4, v11
	v_mov_b32_e32 v20, v12
	global_load_dword v17, v[19:20], off glc slc
	v_min_u32_e32 v0, 8, v8
	v_and_b32_e32 v1, 3, v11
	v_add_u32_e32 v1, v1, v0
	v_cmp_lt_u32_e32 vcc, 4, v1
	v_mov_b32_e32 v9, 0
	v_mov_b32_e32 v10, 0
	s_and_saveexec_b64 s[18:19], vcc
	s_cbranch_execz .LBB2_112
; %bb.111:                              ;   in Loop: Header=BB2_110 Depth=3
	global_load_dword v10, v[19:20], off offset:4 glc slc
.LBB2_112:                              ;   in Loop: Header=BB2_110 Depth=3
	s_or_b64 exec, exec, s[18:19]
	v_cmp_lt_u64_e32 vcc, 8, v[1:2]
	s_and_saveexec_b64 s[18:19], vcc
	s_cbranch_execz .LBB2_114
; %bb.113:                              ;   in Loop: Header=BB2_110 Depth=3
	global_load_dword v9, v[19:20], off offset:8 glc slc
.LBB2_114:                              ;   in Loop: Header=BB2_110 Depth=3
	s_or_b64 exec, exec, s[18:19]
	v_mov_b32_e32 v43, v2
	v_lshlrev_b64 v[0:1], 4, v[42:43]
	v_add_co_u32_e32 v25, vcc, v40, v0
	v_addc_co_u32_e32 v26, vcc, v41, v1, vcc
	global_load_dwordx4 v[19:22], v[25:26], off glc slc
	v_cmp_eq_u32_e32 vcc, 0, v47
	v_mov_b32_e32 v47, 1
	s_and_saveexec_b64 s[58:59], vcc
	s_cbranch_execz .LBB2_109
; %bb.115:                              ;   in Loop: Header=BB2_110 Depth=3
	s_waitcnt vmcnt(0)
	v_cmp_ne_u32_e32 vcc, v30, v20
	v_cmp_ne_u32_e64 s[18:19], v30, v22
	s_or_b64 s[18:19], vcc, s[18:19]
	v_mov_b32_e32 v47, 0
	s_and_saveexec_b64 s[60:61], s[18:19]
	s_cbranch_execz .LBB2_108
; %bb.116:                              ;   in Loop: Header=BB2_110 Depth=3
	s_mov_b32 s26, 1
	s_mov_b64 s[72:73], 0
                                        ; implicit-def: $sgpr62_sgpr63
                                        ; implicit-def: $sgpr74_sgpr75
	s_branch .LBB2_118
.LBB2_117:                              ;   in Loop: Header=BB2_118 Depth=4
	s_or_b64 exec, exec, s[78:79]
	s_and_b64 s[18:19], exec, s[18:19]
	s_or_b64 s[72:73], s[18:19], s[72:73]
	s_andn2_b64 s[18:19], s[62:63], exec
	s_and_b64 s[62:63], s[74:75], exec
	s_or_b64 s[62:63], s[18:19], s[62:63]
	s_andn2_b64 exec, exec, s[72:73]
	s_cbranch_execz .LBB2_122
.LBB2_118:                              ;   Parent Loop BB2_21 Depth=1
                                        ;     Parent Loop BB2_70 Depth=2
                                        ;       Parent Loop BB2_110 Depth=3
                                        ; =>      This Inner Loop Header: Depth=4
	global_load_dwordx4 v[19:22], v[25:26], off glc slc
	s_add_i32 s26, s26, 1
	s_mov_b64 s[18:19], -1
	s_cmpk_lg_i32 s26, 0x2710
	s_mov_b64 s[76:77], -1
                                        ; implicit-def: $vgpr43
	s_cbranch_scc0 .LBB2_120
; %bb.119:                              ;   in Loop: Header=BB2_118 Depth=4
	s_or_b64 s[74:75], s[74:75], exec
	s_and_saveexec_b64 s[78:79], s[76:77]
	s_cbranch_execz .LBB2_117
	s_branch .LBB2_121
.LBB2_120:                              ;   in Loop: Header=BB2_118 Depth=4
	s_trap 2
	ds_read_b64 v[34:35], v0
	s_mov_b32 s26, 0
	s_waitcnt vmcnt(0) lgkmcnt(0)
	flat_load_dword v43, v[34:35] glc
	s_waitcnt vmcnt(0) lgkmcnt(0)
	buffer_wbinvl1_vol
	v_cmp_eq_u32_e32 vcc, 0, v43
	s_orn2_b64 s[76:77], vcc, exec
	s_or_b64 s[74:75], s[74:75], exec
	s_and_saveexec_b64 s[78:79], s[76:77]
	s_cbranch_execz .LBB2_117
.LBB2_121:                              ;   in Loop: Header=BB2_118 Depth=4
	s_waitcnt vmcnt(0)
	v_cmp_eq_u32_e32 vcc, v30, v20
	v_cmp_eq_u32_e64 s[18:19], v30, v22
	s_and_b64 s[18:19], vcc, s[18:19]
	s_andn2_b64 s[74:75], s[74:75], exec
	s_orn2_b64 s[18:19], s[18:19], exec
	s_branch .LBB2_117
.LBB2_122:                              ;   in Loop: Header=BB2_110 Depth=3
	s_or_b64 exec, exec, s[72:73]
	v_mov_b32_e32 v47, 0
	s_and_saveexec_b64 s[18:19], s[62:63]
	s_xor_b64 s[18:19], exec, s[18:19]
	s_cbranch_execz .LBB2_107
; %bb.123:                              ;   in Loop: Header=BB2_110 Depth=3
	v_mov_b32_e32 v47, 1
	ds_write_b32 v0, v43
	s_trap 2
	s_branch .LBB2_107
.LBB2_124:                              ;   in Loop: Header=BB2_70 Depth=2
	s_or_b64 exec, exec, s[46:47]
	s_and_saveexec_b64 s[18:19], s[10:11]
	s_cbranch_execz .LBB2_137
.LBB2_125:                              ;   in Loop: Header=BB2_70 Depth=2
	s_and_saveexec_b64 s[46:47], s[40:41]
	s_xor_b64 s[46:47], exec, s[46:47]
	s_cbranch_execz .LBB2_146
; %bb.126:                              ;   in Loop: Header=BB2_70 Depth=2
	s_and_saveexec_b64 s[56:57], s[12:13]
	s_cbranch_execz .LBB2_145
; %bb.127:                              ;   in Loop: Header=BB2_70 Depth=2
	s_mov_b64 s[60:61], exec
	s_waitcnt vmcnt(0) lgkmcnt(0)
	v_mbcnt_lo_u32_b32 v0, s60, 0
	v_mbcnt_hi_u32_b32 v0, s61, v0
	v_cmp_eq_u32_e32 vcc, 0, v0
	buffer_wbinvl1_vol
	s_and_saveexec_b64 s[58:59], vcc
	s_cbranch_execz .LBB2_129
; %bb.128:                              ;   in Loop: Header=BB2_70 Depth=2
	s_bcnt1_i32_b64 s26, s[60:61]
	v_mov_b32_e32 v1, s26
	ds_add_u64 v0, v[1:2]
	s_trap 2
.LBB2_129:                              ;   in Loop: Header=BB2_70 Depth=2
	s_or_b64 exec, exec, s[58:59]
	s_trap 2
	ds_read_b64 v[0:1], v0
	s_waitcnt lgkmcnt(0)
	buffer_load_dword v8, off, s[0:3], s32 offset:84 ; 4-byte Folded Reload
	s_waitcnt vmcnt(0)
	v_add_co_u32_e32 v44, vcc, v44, v8
	v_addc_co_u32_e32 v45, vcc, 0, v45, vcc
	v_cmp_lt_u64_e32 vcc, v[0:1], v[44:45]
	s_and_saveexec_b64 s[58:59], vcc
	s_cbranch_execz .LBB2_144
; %bb.130:                              ;   in Loop: Header=BB2_70 Depth=2
	s_mov_b32 s26, 0
	s_mov_b64 s[60:61], 0
                                        ; implicit-def: $sgpr62_sgpr63
                                        ; implicit-def: $sgpr72_sgpr73
	s_branch .LBB2_132
.LBB2_131:                              ;   in Loop: Header=BB2_132 Depth=3
	s_or_b64 exec, exec, s[76:77]
	s_and_b64 s[74:75], exec, s[78:79]
	s_or_b64 s[60:61], s[74:75], s[60:61]
	s_andn2_b64 s[62:63], s[62:63], exec
	s_and_b64 s[74:75], s[72:73], exec
	s_or_b64 s[62:63], s[62:63], s[74:75]
	s_andn2_b64 exec, exec, s[60:61]
	s_cbranch_execz .LBB2_142
.LBB2_132:                              ;   Parent Loop BB2_21 Depth=1
                                        ;     Parent Loop BB2_70 Depth=2
                                        ; =>    This Inner Loop Header: Depth=3
	s_add_i32 s26, s26, 1
	s_cmpk_lg_i32 s26, 0x2710
	s_cselect_b64 s[74:75], -1, 0
	s_and_b64 vcc, exec, s[74:75]
	s_cbranch_vccz .LBB2_134
; %bb.133:                              ;   in Loop: Header=BB2_132 Depth=3
	s_mov_b64 s[78:79], -1
	s_or_b64 s[72:73], s[72:73], exec
	s_and_saveexec_b64 s[76:77], s[74:75]
	s_cbranch_execz .LBB2_131
	s_branch .LBB2_135
.LBB2_134:                              ;   in Loop: Header=BB2_132 Depth=3
	s_trap 2
	ds_read_b64 v[0:1], v0
	s_andn2_b64 s[74:75], s[74:75], exec
	s_mov_b32 s26, 0
	s_waitcnt lgkmcnt(0)
	flat_load_dword v0, v[0:1] glc
	s_waitcnt vmcnt(0) lgkmcnt(0)
	buffer_wbinvl1_vol
	v_cmp_eq_u32_e32 vcc, 0, v0
	s_and_b64 s[76:77], vcc, exec
	s_or_b64 s[74:75], s[74:75], s[76:77]
	s_mov_b64 s[78:79], -1
	s_or_b64 s[72:73], s[72:73], exec
	s_and_saveexec_b64 s[76:77], s[74:75]
	s_cbranch_execz .LBB2_131
.LBB2_135:                              ;   in Loop: Header=BB2_132 Depth=3
	s_sleep 1
	s_trap 2
	ds_read_b64 v[0:1], v0
	s_waitcnt lgkmcnt(0)
	s_andn2_b64 s[72:73], s[72:73], exec
	v_cmp_ge_u64_e32 vcc, v[0:1], v[44:45]
	s_orn2_b64 s[78:79], vcc, exec
	s_branch .LBB2_131
.LBB2_136:                              ;   in Loop: Header=BB2_70 Depth=2
	s_or_b64 exec, exec, s[56:57]
	s_or_b64 exec, exec, s[46:47]
	s_and_saveexec_b64 s[18:19], s[10:11]
	s_cbranch_execnz .LBB2_125
.LBB2_137:                              ;   in Loop: Header=BB2_70 Depth=2
	s_or_b64 exec, exec, s[18:19]
	s_and_saveexec_b64 s[18:19], s[14:15]
	s_cbranch_execz .LBB2_139
.LBB2_138:                              ;   in Loop: Header=BB2_70 Depth=2
	s_waitcnt lgkmcnt(0)
	buffer_load_dword v0, off, s[0:3], s32 offset:64 ; 4-byte Folded Reload
	buffer_load_dword v1, off, s[0:3], s32 offset:68 ; 4-byte Folded Reload
	v_add_co_u32_e32 v48, vcc, 1, v48
	v_addc_co_u32_e32 v49, vcc, 0, v49, vcc
	s_waitcnt vmcnt(0)
	flat_store_dwordx2 v[0:1], v[48:49]
.LBB2_139:                              ;   in Loop: Header=BB2_70 Depth=2
	s_or_b64 exec, exec, s[18:19]
	v_and_b32_e32 v1, 0x7ffffff8, v60
	v_cmp_eq_u64_e32 vcc, s[44:45], v[1:2]
	v_cmp_gt_i32_e64 s[18:19], s92, v42
	s_and_b64 s[18:19], vcc, s[18:19]
	s_and_saveexec_b64 s[46:47], s[18:19]
	s_cbranch_execz .LBB2_69
; %bb.140:                              ;   in Loop: Header=BB2_70 Depth=2
	s_waitcnt vmcnt(0) lgkmcnt(0)
	v_and_b32_e32 v0, 7, v31
	v_mul_lo_u32 v0, s92, v0
	v_ashrrev_i32_e32 v43, 31, v42
	v_lshlrev_b64 v[8:9], 4, v[42:43]
	v_mov_b32_e32 v17, v2
	v_ashrrev_i32_e32 v1, 31, v0
	v_lshlrev_b64 v[0:1], 4, v[0:1]
	s_mov_b64 s[56:57], 0
	v_add_co_u32_e32 v0, vcc, v8, v0
	v_addc_co_u32_e32 v1, vcc, v9, v1, vcc
	v_add_co_u32_e32 v0, vcc, v38, v0
	v_addc_co_u32_e32 v1, vcc, v39, v1, vcc
.LBB2_141:                              ;   Parent Loop BB2_21 Depth=1
                                        ;     Parent Loop BB2_70 Depth=2
                                        ; =>    This Inner Loop Header: Depth=3
	v_mov_b32_e32 v19, v17
	v_mov_b32_e32 v20, v18
	v_add_u32_e32 v42, v42, v29
	global_store_dwordx4 v[0:1], v[17:20], off
	v_add_co_u32_e32 v0, vcc, v0, v5
	v_cmp_le_i32_e64 s[18:19], s92, v42
	s_or_b64 s[56:57], s[18:19], s[56:57]
	v_addc_co_u32_e32 v1, vcc, v1, v6, vcc
	s_andn2_b64 exec, exec, s[56:57]
	s_cbranch_execnz .LBB2_141
	s_branch .LBB2_69
.LBB2_142:                              ;   in Loop: Header=BB2_70 Depth=2
	s_or_b64 exec, exec, s[60:61]
	s_and_saveexec_b64 s[60:61], s[62:63]
	s_xor_b64 s[60:61], exec, s[60:61]
	s_cbranch_execz .LBB2_144
; %bb.143:                              ;   in Loop: Header=BB2_70 Depth=2
	v_mov_b32_e32 v0, 1
	ds_write_b32 v0, v0
	s_trap 2
.LBB2_144:                              ;   in Loop: Header=BB2_70 Depth=2
	s_or_b64 exec, exec, s[58:59]
	;;#ASMSTART
	s_wakeup
	;;#ASMEND
.LBB2_145:                              ;   in Loop: Header=BB2_70 Depth=2
	s_or_b64 exec, exec, s[56:57]
.LBB2_146:                              ;   in Loop: Header=BB2_70 Depth=2
	s_andn2_saveexec_b64 s[46:47], s[46:47]
	s_cbranch_execz .LBB2_148
; %bb.147:                              ;   in Loop: Header=BB2_70 Depth=2
	s_waitcnt vmcnt(0) lgkmcnt(0)
	buffer_wbinvl1_vol
	s_barrier
.LBB2_148:                              ;   in Loop: Header=BB2_70 Depth=2
	s_or_b64 exec, exec, s[46:47]
	s_or_b64 exec, exec, s[18:19]
	s_and_saveexec_b64 s[18:19], s[14:15]
	s_cbranch_execnz .LBB2_138
	s_branch .LBB2_139
.LBB2_149:                              ;   in Loop: Header=BB2_21 Depth=1
	buffer_load_dword v32, off, s[0:3], s32 offset:96 ; 4-byte Folded Reload
	buffer_load_dword v33, off, s[0:3], s32 offset:100 ; 4-byte Folded Reload
	;; [unrolled: 1-line block ×6, first 2 shown]
.LBB2_150:                              ;   in Loop: Header=BB2_21 Depth=1
	v_mov_b32_e32 v21, v60
	v_mov_b32_e32 v22, v61
	buffer_load_dword v41, off, s[0:3], s32 offset:124 ; 4-byte Folded Reload
	buffer_load_dword v42, off, s[0:3], s32 offset:128 ; 4-byte Folded Reload
	;; [unrolled: 1-line block ×4, first 2 shown]
	s_and_saveexec_b64 s[18:19], s[16:17]
	s_cbranch_execz .LBB2_187
; %bb.151:                              ;   in Loop: Header=BB2_21 Depth=1
	flat_load_dword v8, v[23:24]
	s_waitcnt lgkmcnt(0)
	buffer_load_dword v17, off, s[0:3], s32 offset:148 ; 4-byte Folded Reload
	buffer_load_dword v18, off, s[0:3], s32 offset:152 ; 4-byte Folded Reload
	;; [unrolled: 1-line block ×4, first 2 shown]
	v_add_u32_e32 v40, 1, v36
	s_mov_b64 s[46:47], 0
	s_waitcnt vmcnt(0)
	v_ashrrev_i32_e32 v9, 31, v8
	v_mov_b32_e32 v10, v19
	v_add_co_u32_e32 v0, vcc, v10, v12
	buffer_load_dword v10, off, s[0:3], s32 offset:60 ; 4-byte Folded Reload
	v_mov_b32_e32 v11, v20
	v_addc_co_u32_e32 v1, vcc, v11, v30, vcc
	v_mad_u64_u32 v[0:1], s[16:17], v3, v8, v[0:1]
	v_mul_lo_u32 v9, v3, v9
	s_waitcnt vmcnt(0)
	v_mul_lo_u32 v10, v10, v8
	buffer_load_dword v8, off, s[0:3], s32 offset:112 ; 4-byte Folded Reload
	v_add3_u32 v1, v10, v1, v9
	s_waitcnt vmcnt(0)
	v_add_co_u32_e32 v25, vcc, v0, v8
	buffer_load_dword v0, off, s[0:3], s32 offset:172 ; 4-byte Folded Reload
	v_addc_co_u32_e32 v26, vcc, 0, v1, vcc
	s_waitcnt vmcnt(0)
	v_add_co_u32_e32 v32, vcc, v0, v12
	buffer_load_dword v0, off, s[0:3], s32 offset:176 ; 4-byte Folded Reload
	buffer_load_dword v8, off, s[0:3], s32 offset:72 ; 4-byte Folded Reload
	;; [unrolled: 1-line block ×3, first 2 shown]
	s_waitcnt vmcnt(2)
	v_addc_co_u32_e32 v33, vcc, v0, v30, vcc
	v_and_b32_e32 v0, 7, v36
	v_mul_lo_u32 v0, v0, s92
	v_ashrrev_i32_e32 v1, 31, v0
	v_lshlrev_b64 v[0:1], 4, v[0:1]
	s_waitcnt vmcnt(1)
	v_add_co_u32_e32 v30, vcc, v8, v0
	s_waitcnt vmcnt(0)
	v_addc_co_u32_e32 v31, vcc, v9, v1, vcc
	v_mov_b32_e32 v0, v4
	s_branch .LBB2_153
.LBB2_152:                              ;   in Loop: Header=BB2_153 Depth=2
	v_add_co_u32_e32 v25, vcc, v25, v7
	v_addc_co_u32_e32 v26, vcc, 0, v26, vcc
	v_add_co_u32_e32 v32, vcc, v32, v7
	v_addc_co_u32_e32 v33, vcc, 0, v33, vcc
	v_sub_u32_e32 v62, v62, v7
	v_cmp_gt_i32_e32 vcc, 1, v62
	s_or_b64 s[46:47], vcc, s[46:47]
	v_add_u32_e32 v0, v0, v29
	s_andn2_b64 exec, exec, s[46:47]
	s_cbranch_execz .LBB2_199
.LBB2_153:                              ;   Parent Loop BB2_21 Depth=1
                                        ; =>  This Loop Header: Depth=2
                                        ;       Child Loop BB2_161 Depth 3
	v_and_b32_e32 v11, -4, v25
	v_mov_b32_e32 v12, v26
	global_load_dword v8, v[11:12], off glc slc
	v_min_u32_e32 v1, 8, v62
	v_and_b32_e32 v9, 3, v25
	v_add_u32_e32 v1, v9, v1
	v_cmp_lt_u32_e32 vcc, 4, v1
	v_mov_b32_e32 v9, 0
	v_mov_b32_e32 v10, 0
	s_and_saveexec_b64 s[16:17], vcc
	s_cbranch_execz .LBB2_155
; %bb.154:                              ;   in Loop: Header=BB2_153 Depth=2
	global_load_dword v10, v[11:12], off offset:4 glc slc
.LBB2_155:                              ;   in Loop: Header=BB2_153 Depth=2
	s_or_b64 exec, exec, s[16:17]
	v_cmp_lt_u64_e32 vcc, 8, v[1:2]
	s_and_saveexec_b64 s[16:17], vcc
	s_cbranch_execz .LBB2_157
; %bb.156:                              ;   in Loop: Header=BB2_153 Depth=2
	global_load_dword v9, v[11:12], off offset:8 glc slc
.LBB2_157:                              ;   in Loop: Header=BB2_153 Depth=2
	s_or_b64 exec, exec, s[16:17]
	v_mov_b32_e32 v1, v2
	v_lshlrev_b64 v[11:12], 4, v[0:1]
	v_add_co_u32_e32 v11, vcc, v30, v11
	v_addc_co_u32_e32 v12, vcc, v31, v12, vcc
	global_load_dwordx4 v[17:20], v[11:12], off glc slc
	v_cmp_eq_u32_e32 vcc, 0, v47
	v_mov_b32_e32 v47, 1
	s_and_saveexec_b64 s[56:57], vcc
	s_cbranch_execz .LBB2_169
; %bb.158:                              ;   in Loop: Header=BB2_153 Depth=2
	s_waitcnt vmcnt(0)
	v_cmp_ne_u32_e32 vcc, v40, v18
	v_cmp_ne_u32_e64 s[16:17], v40, v20
	s_or_b64 s[16:17], vcc, s[16:17]
	v_mov_b32_e32 v47, 0
	s_and_saveexec_b64 s[58:59], s[16:17]
	s_cbranch_execz .LBB2_168
; %bb.159:                              ;   in Loop: Header=BB2_153 Depth=2
	s_mov_b32 s26, 1
	s_mov_b64 s[62:63], 0
                                        ; implicit-def: $sgpr60_sgpr61
                                        ; implicit-def: $sgpr72_sgpr73
	s_branch .LBB2_161
.LBB2_160:                              ;   in Loop: Header=BB2_161 Depth=3
	s_or_b64 exec, exec, s[76:77]
	s_and_b64 s[16:17], exec, s[16:17]
	s_or_b64 s[62:63], s[16:17], s[62:63]
	s_andn2_b64 s[16:17], s[60:61], exec
	s_and_b64 s[60:61], s[72:73], exec
	s_or_b64 s[60:61], s[16:17], s[60:61]
	s_andn2_b64 exec, exec, s[62:63]
	s_cbranch_execz .LBB2_165
.LBB2_161:                              ;   Parent Loop BB2_21 Depth=1
                                        ;     Parent Loop BB2_153 Depth=2
                                        ; =>    This Inner Loop Header: Depth=3
	global_load_dwordx4 v[17:20], v[11:12], off glc slc
	s_add_i32 s26, s26, 1
	s_mov_b64 s[16:17], -1
	s_cmpk_lg_i32 s26, 0x2710
	s_mov_b64 s[74:75], -1
                                        ; implicit-def: $vgpr1
	s_cbranch_scc0 .LBB2_163
; %bb.162:                              ;   in Loop: Header=BB2_161 Depth=3
	s_or_b64 s[72:73], s[72:73], exec
	s_and_saveexec_b64 s[76:77], s[74:75]
	s_cbranch_execz .LBB2_160
	s_branch .LBB2_164
.LBB2_163:                              ;   in Loop: Header=BB2_161 Depth=3
	s_trap 2
	ds_read_b64 v[50:51], v0
	s_mov_b32 s26, 0
	s_waitcnt vmcnt(0) lgkmcnt(0)
	flat_load_dword v1, v[50:51] glc
	s_waitcnt vmcnt(0) lgkmcnt(0)
	buffer_wbinvl1_vol
	v_cmp_eq_u32_e32 vcc, 0, v1
	s_orn2_b64 s[74:75], vcc, exec
	s_or_b64 s[72:73], s[72:73], exec
	s_and_saveexec_b64 s[76:77], s[74:75]
	s_cbranch_execz .LBB2_160
.LBB2_164:                              ;   in Loop: Header=BB2_161 Depth=3
	s_waitcnt vmcnt(0)
	v_cmp_eq_u32_e32 vcc, v40, v18
	v_cmp_eq_u32_e64 s[16:17], v40, v20
	s_and_b64 s[16:17], vcc, s[16:17]
	s_andn2_b64 s[72:73], s[72:73], exec
	s_orn2_b64 s[16:17], s[16:17], exec
	s_branch .LBB2_160
.LBB2_165:                              ;   in Loop: Header=BB2_153 Depth=2
	s_or_b64 exec, exec, s[62:63]
	v_mov_b32_e32 v47, 0
	s_and_saveexec_b64 s[16:17], s[60:61]
	s_xor_b64 s[16:17], exec, s[16:17]
	s_cbranch_execz .LBB2_167
; %bb.166:                              ;   in Loop: Header=BB2_153 Depth=2
	v_mov_b32_e32 v47, 1
	ds_write_b32 v0, v1
	s_trap 2
.LBB2_167:                              ;   in Loop: Header=BB2_153 Depth=2
	s_or_b64 exec, exec, s[16:17]
.LBB2_168:                              ;   in Loop: Header=BB2_153 Depth=2
	s_or_b64 exec, exec, s[58:59]
.LBB2_169:                              ;   in Loop: Header=BB2_153 Depth=2
	s_or_b64 exec, exec, s[56:57]
	v_lshlrev_b32_e32 v1, 3, v25
	s_waitcnt vmcnt(0)
	v_alignbit_b32 v8, v10, v8, v1
	v_alignbit_b32 v1, v9, v10, v1
	v_lshrrev_b32_e32 v9, 8, v8
	v_lshrrev_b32_e32 v10, 24, v8
	v_mul_lo_u32 v9, v46, v9
	v_mul_lo_u32 v10, v56, v10
	;; [unrolled: 1-line block ×3, first 2 shown]
	v_lshrrev_b32_e32 v8, 16, v8
	v_mul_lo_u32 v8, v57, v8
	v_perm_b32 v9, v10, v9, s34
	v_lshrrev_b32_e32 v10, 8, v1
	v_lshrrev_b32_e32 v12, 24, v1
	s_waitcnt vmcnt(0)
	v_mul_lo_u32 v18, v27, v1
	v_lshrrev_b32_e32 v1, 16, v1
	v_mul_lo_u32 v20, v57, v1
	v_mul_lo_u32 v10, v46, v10
	;; [unrolled: 1-line block ×3, first 2 shown]
	v_and_b32_e32 v1, 0xff00ff, v17
	v_perm_b32 v8, v8, v11, s94
	v_add_u32_e32 v1, v1, v8
	v_and_b32_e32 v8, 0xff00ff00, v17
	v_add_co_u32_e32 v8, vcc, v8, v9
	v_and_b32_e32 v9, 0xff00ff, v19
	v_perm_b32 v11, v20, v18, s94
	v_perm_b32 v10, v12, v10, s34
	v_add_u32_e32 v9, v9, v11
	v_and_b32_e32 v11, 0xff00ff00, v19
	v_add_co_u32_e32 v10, vcc, v11, v10
	v_cmp_lt_u32_e32 vcc, 7, v62
	s_cmp_lg_u64 vcc, exec
	s_mov_b64 s[16:17], -1
	s_cbranch_scc0 .LBB2_179
; %bb.170:                              ;   in Loop: Header=BB2_153 Depth=2
	v_cmp_ne_u32_e64 s[16:17], 1, v62
	flat_store_byte v[32:33], v1
	s_and_saveexec_b64 s[56:57], s[16:17]
	s_cbranch_execz .LBB2_181
; %bb.171:                              ;   in Loop: Header=BB2_153 Depth=2
	v_lshrrev_b32_e32 v11, 8, v8
	flat_store_byte v[32:33], v11 offset:1
	s_or_b64 exec, exec, s[56:57]
	v_cmp_lt_u32_e64 s[16:17], 2, v62
	s_and_saveexec_b64 s[56:57], s[16:17]
	s_cbranch_execnz .LBB2_182
.LBB2_172:                              ;   in Loop: Header=BB2_153 Depth=2
	s_or_b64 exec, exec, s[56:57]
	v_cmp_lt_u32_e64 s[16:17], 3, v62
	s_and_saveexec_b64 s[56:57], s[16:17]
	s_cbranch_execz .LBB2_183
.LBB2_173:                              ;   in Loop: Header=BB2_153 Depth=2
	v_lshrrev_b32_e32 v11, 24, v8
	flat_store_byte v[32:33], v11 offset:3
	s_or_b64 exec, exec, s[56:57]
	v_cmp_lt_u32_e64 s[16:17], 4, v62
	s_and_saveexec_b64 s[56:57], s[16:17]
	s_cbranch_execnz .LBB2_184
.LBB2_174:                              ;   in Loop: Header=BB2_153 Depth=2
	s_or_b64 exec, exec, s[56:57]
	v_cmp_lt_u32_e64 s[16:17], 5, v62
	s_and_saveexec_b64 s[56:57], s[16:17]
	s_cbranch_execz .LBB2_185
.LBB2_175:                              ;   in Loop: Header=BB2_153 Depth=2
	v_lshrrev_b32_e32 v11, 8, v10
	flat_store_byte v[32:33], v11 offset:5
	s_or_b64 exec, exec, s[56:57]
	v_cmp_lt_u32_e64 s[16:17], 6, v62
	s_and_saveexec_b64 s[56:57], s[16:17]
	s_cbranch_execnz .LBB2_186
.LBB2_176:                              ;   in Loop: Header=BB2_153 Depth=2
	s_or_b64 exec, exec, s[56:57]
	s_and_saveexec_b64 s[16:17], vcc
	s_cbranch_execz .LBB2_178
.LBB2_177:                              ;   in Loop: Header=BB2_153 Depth=2
	v_lshrrev_b32_e32 v11, 24, v10
	flat_store_byte v[32:33], v11 offset:7
.LBB2_178:                              ;   in Loop: Header=BB2_153 Depth=2
	s_or_b64 exec, exec, s[16:17]
	s_mov_b64 s[16:17], 0
.LBB2_179:                              ;   in Loop: Header=BB2_153 Depth=2
	s_and_b64 vcc, exec, s[16:17]
	s_cbranch_vccz .LBB2_152
; %bb.180:                              ;   in Loop: Header=BB2_153 Depth=2
	v_and_b32_e32 v8, 0xff00ff00, v8
	v_perm_b32 v9, v10, v9, s31
	v_and_b32_e32 v1, 0xff00ff, v1
	v_or3_b32 v9, v9, 0, 0
	v_or3_b32 v8, 0, v1, v8
	global_store_dwordx2 v[32:33], v[8:9], off
	s_branch .LBB2_152
.LBB2_181:                              ;   in Loop: Header=BB2_153 Depth=2
	s_or_b64 exec, exec, s[56:57]
	v_cmp_lt_u32_e64 s[16:17], 2, v62
	s_and_saveexec_b64 s[56:57], s[16:17]
	s_cbranch_execz .LBB2_172
.LBB2_182:                              ;   in Loop: Header=BB2_153 Depth=2
	flat_store_byte_d16_hi v[32:33], v1 offset:2
	s_or_b64 exec, exec, s[56:57]
	v_cmp_lt_u32_e64 s[16:17], 3, v62
	s_and_saveexec_b64 s[56:57], s[16:17]
	s_cbranch_execnz .LBB2_173
.LBB2_183:                              ;   in Loop: Header=BB2_153 Depth=2
	s_or_b64 exec, exec, s[56:57]
	v_cmp_lt_u32_e64 s[16:17], 4, v62
	s_and_saveexec_b64 s[56:57], s[16:17]
	s_cbranch_execz .LBB2_174
.LBB2_184:                              ;   in Loop: Header=BB2_153 Depth=2
	flat_store_byte v[32:33], v9 offset:4
	s_or_b64 exec, exec, s[56:57]
	v_cmp_lt_u32_e64 s[16:17], 5, v62
	s_and_saveexec_b64 s[56:57], s[16:17]
	s_cbranch_execnz .LBB2_175
.LBB2_185:                              ;   in Loop: Header=BB2_153 Depth=2
	s_or_b64 exec, exec, s[56:57]
	v_cmp_lt_u32_e64 s[16:17], 6, v62
	s_and_saveexec_b64 s[56:57], s[16:17]
	s_cbranch_execz .LBB2_176
.LBB2_186:                              ;   in Loop: Header=BB2_153 Depth=2
	flat_store_byte_d16_hi v[32:33], v9 offset:6
	s_or_b64 exec, exec, s[56:57]
	s_and_saveexec_b64 s[16:17], vcc
	s_cbranch_execnz .LBB2_177
	s_branch .LBB2_178
.LBB2_187:                              ;   in Loop: Header=BB2_21 Depth=1
	s_or_b64 exec, exec, s[18:19]
	s_and_saveexec_b64 s[16:17], s[10:11]
	s_cbranch_execz .LBB2_200
.LBB2_188:                              ;   in Loop: Header=BB2_21 Depth=1
	s_and_saveexec_b64 s[18:19], s[40:41]
	s_xor_b64 s[18:19], exec, s[18:19]
	s_cbranch_execz .LBB2_205
; %bb.189:                              ;   in Loop: Header=BB2_21 Depth=1
	s_and_saveexec_b64 s[46:47], s[12:13]
	s_cbranch_execz .LBB2_204
; %bb.190:                              ;   in Loop: Header=BB2_21 Depth=1
	s_mov_b64 s[58:59], exec
	s_waitcnt vmcnt(0) lgkmcnt(0)
	v_mbcnt_lo_u32_b32 v0, s58, 0
	v_mbcnt_hi_u32_b32 v0, s59, v0
	v_cmp_eq_u32_e32 vcc, 0, v0
	buffer_wbinvl1_vol
	s_and_saveexec_b64 s[56:57], vcc
	s_cbranch_execz .LBB2_192
; %bb.191:                              ;   in Loop: Header=BB2_21 Depth=1
	s_bcnt1_i32_b64 s26, s[58:59]
	v_mov_b32_e32 v1, s26
	ds_add_u64 v0, v[1:2]
	s_trap 2
.LBB2_192:                              ;   in Loop: Header=BB2_21 Depth=1
	s_or_b64 exec, exec, s[56:57]
	s_trap 2
	ds_read_b64 v[0:1], v0
	s_waitcnt lgkmcnt(0)
	buffer_load_dword v8, off, s[0:3], s32 offset:84 ; 4-byte Folded Reload
	s_waitcnt vmcnt(0)
	v_add_co_u32_e32 v44, vcc, v44, v8
	v_addc_co_u32_e32 v45, vcc, 0, v45, vcc
	v_cmp_lt_u64_e32 vcc, v[0:1], v[44:45]
	s_and_saveexec_b64 s[56:57], vcc
	s_cbranch_execz .LBB2_203
; %bb.193:                              ;   in Loop: Header=BB2_21 Depth=1
	s_mov_b32 s26, 0
	s_mov_b64 s[58:59], 0
                                        ; implicit-def: $sgpr60_sgpr61
                                        ; implicit-def: $sgpr62_sgpr63
	s_branch .LBB2_195
.LBB2_194:                              ;   in Loop: Header=BB2_195 Depth=2
	s_or_b64 exec, exec, s[74:75]
	s_and_b64 s[72:73], exec, s[76:77]
	s_or_b64 s[58:59], s[72:73], s[58:59]
	s_andn2_b64 s[60:61], s[60:61], exec
	s_and_b64 s[72:73], s[62:63], exec
	s_or_b64 s[60:61], s[60:61], s[72:73]
	s_andn2_b64 exec, exec, s[58:59]
	s_cbranch_execz .LBB2_201
.LBB2_195:                              ;   Parent Loop BB2_21 Depth=1
                                        ; =>  This Inner Loop Header: Depth=2
	s_add_i32 s26, s26, 1
	s_cmpk_lg_i32 s26, 0x2710
	s_cselect_b64 s[72:73], -1, 0
	s_and_b64 vcc, exec, s[72:73]
	s_cbranch_vccz .LBB2_197
; %bb.196:                              ;   in Loop: Header=BB2_195 Depth=2
	s_mov_b64 s[76:77], -1
	s_or_b64 s[62:63], s[62:63], exec
	s_and_saveexec_b64 s[74:75], s[72:73]
	s_cbranch_execz .LBB2_194
	s_branch .LBB2_198
.LBB2_197:                              ;   in Loop: Header=BB2_195 Depth=2
	s_trap 2
	ds_read_b64 v[0:1], v0
	s_andn2_b64 s[72:73], s[72:73], exec
	s_mov_b32 s26, 0
	s_waitcnt lgkmcnt(0)
	flat_load_dword v0, v[0:1] glc
	s_waitcnt vmcnt(0) lgkmcnt(0)
	buffer_wbinvl1_vol
	v_cmp_eq_u32_e32 vcc, 0, v0
	s_and_b64 s[74:75], vcc, exec
	s_or_b64 s[72:73], s[72:73], s[74:75]
	s_mov_b64 s[76:77], -1
	s_or_b64 s[62:63], s[62:63], exec
	s_and_saveexec_b64 s[74:75], s[72:73]
	s_cbranch_execz .LBB2_194
.LBB2_198:                              ;   in Loop: Header=BB2_195 Depth=2
	s_sleep 1
	s_trap 2
	ds_read_b64 v[0:1], v0
	s_waitcnt lgkmcnt(0)
	s_andn2_b64 s[62:63], s[62:63], exec
	v_cmp_ge_u64_e32 vcc, v[0:1], v[44:45]
	s_orn2_b64 s[76:77], vcc, exec
	s_branch .LBB2_194
.LBB2_199:                              ;   in Loop: Header=BB2_21 Depth=1
	s_or_b64 exec, exec, s[46:47]
	buffer_load_dword v32, off, s[0:3], s32 offset:96 ; 4-byte Folded Reload
	buffer_load_dword v33, off, s[0:3], s32 offset:100 ; 4-byte Folded Reload
	;; [unrolled: 1-line block ×4, first 2 shown]
	s_or_b64 exec, exec, s[18:19]
	s_and_saveexec_b64 s[16:17], s[10:11]
	s_cbranch_execnz .LBB2_188
.LBB2_200:                              ;   in Loop: Header=BB2_21 Depth=1
	s_or_b64 exec, exec, s[16:17]
	s_and_saveexec_b64 s[16:17], s[14:15]
	s_cbranch_execz .LBB2_20
	s_branch .LBB2_208
.LBB2_201:                              ;   in Loop: Header=BB2_21 Depth=1
	s_or_b64 exec, exec, s[58:59]
	s_and_saveexec_b64 s[58:59], s[60:61]
	s_xor_b64 s[58:59], exec, s[58:59]
	s_cbranch_execz .LBB2_203
; %bb.202:                              ;   in Loop: Header=BB2_21 Depth=1
	v_mov_b32_e32 v0, 1
	ds_write_b32 v0, v0
	s_trap 2
.LBB2_203:                              ;   in Loop: Header=BB2_21 Depth=1
	s_or_b64 exec, exec, s[56:57]
	;;#ASMSTART
	s_wakeup
	;;#ASMEND
.LBB2_204:                              ;   in Loop: Header=BB2_21 Depth=1
	s_or_b64 exec, exec, s[46:47]
.LBB2_205:                              ;   in Loop: Header=BB2_21 Depth=1
	s_andn2_saveexec_b64 s[18:19], s[18:19]
	s_cbranch_execz .LBB2_207
; %bb.206:                              ;   in Loop: Header=BB2_21 Depth=1
	s_waitcnt vmcnt(0) lgkmcnt(0)
	buffer_wbinvl1_vol
	s_barrier
.LBB2_207:                              ;   in Loop: Header=BB2_21 Depth=1
	s_or_b64 exec, exec, s[18:19]
	s_or_b64 exec, exec, s[16:17]
	s_and_saveexec_b64 s[16:17], s[14:15]
	s_cbranch_execz .LBB2_20
.LBB2_208:                              ;   in Loop: Header=BB2_21 Depth=1
	s_waitcnt lgkmcnt(0)
	buffer_load_dword v0, off, s[0:3], s32 offset:64 ; 4-byte Folded Reload
	buffer_load_dword v1, off, s[0:3], s32 offset:68 ; 4-byte Folded Reload
	v_add_co_u32_e32 v48, vcc, 1, v48
	v_addc_co_u32_e32 v49, vcc, 0, v49, vcc
	s_waitcnt vmcnt(0)
	flat_store_dwordx2 v[0:1], v[48:49]
	s_branch .LBB2_20
.LBB2_209:
	s_or_b64 exec, exec, s[28:29]
	buffer_load_dword v31, off, s[0:3], s32 offset:188 ; 4-byte Folded Reload
	buffer_load_dword v19, off, s[0:3], s32 offset:192 ; 4-byte Folded Reload
	;; [unrolled: 1-line block ×6, first 2 shown]
.LBB2_210:
	s_or_b64 exec, exec, s[24:25]
	s_and_saveexec_b64 s[6:7], s[22:23]
	s_cbranch_execz .LBB2_213
; %bb.211:
	s_waitcnt vmcnt(0) lgkmcnt(0)
	flat_store_dwordx2 v[25:26], v[48:49] offset:104
	s_or_b64 exec, exec, s[6:7]
	s_and_saveexec_b64 s[6:7], s[4:5]
	s_cbranch_execnz .LBB2_214
.LBB2_212:
	s_or_b64 exec, exec, s[6:7]
	v_cmp_ne_u32_e32 vcc, 64, v29
	s_and_saveexec_b64 s[4:5], vcc
	s_cbranch_execnz .LBB2_215
	s_branch .LBB2_232
.LBB2_213:
	s_or_b64 exec, exec, s[6:7]
	s_and_saveexec_b64 s[6:7], s[4:5]
	s_cbranch_execz .LBB2_212
.LBB2_214:
	s_waitcnt vmcnt(0) lgkmcnt(0)
	flat_store_dwordx2 v[11:12], v[15:16] offset:104
	s_or_b64 exec, exec, s[6:7]
	v_cmp_ne_u32_e32 vcc, 64, v29
	s_and_saveexec_b64 s[4:5], vcc
	s_cbranch_execz .LBB2_232
.LBB2_215:
	s_waitcnt vmcnt(0)
	v_cmp_ne_u32_sdwa s[6:7], v29, v19 src0_sel:DWORD src1_sel:WORD_0
	s_and_saveexec_b64 s[8:9], s[6:7]
	s_xor_b64 s[6:7], exec, s[8:9]
	s_cbranch_execz .LBB2_230
; %bb.216:
	s_waitcnt lgkmcnt(0)
	v_and_b32_e32 v0, 63, v31
	v_cmp_eq_u32_e32 vcc, 0, v0
	s_and_saveexec_b64 s[8:9], vcc
	s_cbranch_execz .LBB2_229
; %bb.217:
	s_mov_b64 s[12:13], exec
	v_mbcnt_lo_u32_b32 v0, s12, 0
	v_mbcnt_hi_u32_b32 v0, s13, v0
	v_cmp_eq_u32_e32 vcc, 0, v0
	buffer_wbinvl1_vol
	s_and_saveexec_b64 s[10:11], vcc
	s_cbranch_execz .LBB2_219
; %bb.218:
	s_bcnt1_i32_b64 s12, s[12:13]
	v_mov_b32_e32 v0, s12
	v_mov_b32_e32 v1, 0
	ds_add_u64 v0, v[0:1]
	s_trap 2
.LBB2_219:
	s_or_b64 exec, exec, s[10:11]
	v_lshrrev_b32_e32 v0, 6, v29
	s_trap 2
	ds_read_b64 v[2:3], v0
	s_waitcnt lgkmcnt(0)
	v_add_co_u32_e32 v0, vcc, v44, v0
	v_addc_co_u32_e32 v1, vcc, 0, v45, vcc
	v_cmp_lt_u64_e32 vcc, v[2:3], v[0:1]
	s_and_saveexec_b64 s[10:11], vcc
	s_cbranch_execz .LBB2_228
; %bb.220:
	s_mov_b32 s24, 0
	s_mov_b64 s[12:13], 0
                                        ; implicit-def: $sgpr14_sgpr15
                                        ; implicit-def: $sgpr16_sgpr17
	s_branch .LBB2_222
.LBB2_221:                              ;   in Loop: Header=BB2_222 Depth=1
	s_or_b64 exec, exec, s[20:21]
	s_and_b64 s[18:19], exec, s[22:23]
	s_or_b64 s[12:13], s[18:19], s[12:13]
	s_andn2_b64 s[14:15], s[14:15], exec
	s_and_b64 s[18:19], s[16:17], exec
	s_or_b64 s[14:15], s[14:15], s[18:19]
	s_andn2_b64 exec, exec, s[12:13]
	s_cbranch_execz .LBB2_226
.LBB2_222:                              ; =>This Inner Loop Header: Depth=1
	s_add_i32 s24, s24, 1
	s_cmpk_lg_i32 s24, 0x2710
	s_cselect_b64 s[18:19], -1, 0
	s_and_b64 vcc, exec, s[18:19]
	s_cbranch_vccz .LBB2_224
; %bb.223:                              ;   in Loop: Header=BB2_222 Depth=1
	s_mov_b64 s[22:23], -1
	s_or_b64 s[16:17], s[16:17], exec
	s_and_saveexec_b64 s[20:21], s[18:19]
	s_cbranch_execz .LBB2_221
	s_branch .LBB2_225
.LBB2_224:                              ;   in Loop: Header=BB2_222 Depth=1
	s_trap 2
	ds_read_b64 v[2:3], v0
	s_andn2_b64 s[18:19], s[18:19], exec
	s_mov_b32 s24, 0
	s_waitcnt lgkmcnt(0)
	flat_load_dword v2, v[2:3] glc
	s_waitcnt vmcnt(0) lgkmcnt(0)
	buffer_wbinvl1_vol
	v_cmp_eq_u32_e32 vcc, 0, v2
	s_and_b64 s[20:21], vcc, exec
	s_or_b64 s[18:19], s[18:19], s[20:21]
	s_mov_b64 s[22:23], -1
	s_or_b64 s[16:17], s[16:17], exec
	s_and_saveexec_b64 s[20:21], s[18:19]
	s_cbranch_execz .LBB2_221
.LBB2_225:                              ;   in Loop: Header=BB2_222 Depth=1
	s_sleep 1
	s_trap 2
	ds_read_b64 v[2:3], v0
	s_waitcnt lgkmcnt(0)
	s_andn2_b64 s[16:17], s[16:17], exec
	v_cmp_ge_u64_e32 vcc, v[2:3], v[0:1]
	s_orn2_b64 s[22:23], vcc, exec
	s_branch .LBB2_221
.LBB2_226:
	s_or_b64 exec, exec, s[12:13]
	s_and_saveexec_b64 s[12:13], s[14:15]
	s_xor_b64 s[12:13], exec, s[12:13]
	s_cbranch_execz .LBB2_228
; %bb.227:
	v_mov_b32_e32 v0, 1
	ds_write_b32 v0, v0
	s_trap 2
.LBB2_228:
	s_or_b64 exec, exec, s[10:11]
	;;#ASMSTART
	s_wakeup
	;;#ASMEND
.LBB2_229:
	s_or_b64 exec, exec, s[8:9]
.LBB2_230:
	s_andn2_saveexec_b64 s[6:7], s[6:7]
	s_cbranch_execz .LBB2_232
; %bb.231:
	s_waitcnt lgkmcnt(0)
	buffer_wbinvl1_vol
	s_barrier
.LBB2_232:
	s_or_b64 exec, exec, s[4:5]
	buffer_load_dword v62, off, s[0:3], s32 ; 4-byte Folded Reload
	buffer_load_dword v61, off, s[0:3], s32 offset:4 ; 4-byte Folded Reload
	buffer_load_dword v60, off, s[0:3], s32 offset:8 ; 4-byte Folded Reload
	;; [unrolled: 1-line block ×14, first 2 shown]
	v_readlane_b32 s30, v63, 2
	v_readlane_b32 s31, v63, 3
	;; [unrolled: 1-line block ×4, first 2 shown]
	s_or_saveexec_b64 s[4:5], -1
	buffer_load_dword v63, off, s[0:3], s32 offset:212 ; 4-byte Folded Reload
	s_mov_b64 exec, s[4:5]
	s_waitcnt vmcnt(0) lgkmcnt(0)
	s_setpc_b64 s[30:31]
.Lfunc_end2:
	.size	_ZN12_GLOBAL__N_17runRingIh13FuncPreMulSumIhE7ProtoLLLi0ELi2ELi0EEEviiP15ncclDevWorkColl, .Lfunc_end2-_ZN12_GLOBAL__N_17runRingIh13FuncPreMulSumIhE7ProtoLLLi0ELi2ELi0EEEviiP15ncclDevWorkColl
                                        ; -- End function
	.set .L_ZN12_GLOBAL__N_17runRingIh13FuncPreMulSumIhE7ProtoLLLi0ELi2ELi0EEEviiP15ncclDevWorkColl.num_vgpr, 64
	.set .L_ZN12_GLOBAL__N_17runRingIh13FuncPreMulSumIhE7ProtoLLLi0ELi2ELi0EEEviiP15ncclDevWorkColl.num_agpr, 0
	.set .L_ZN12_GLOBAL__N_17runRingIh13FuncPreMulSumIhE7ProtoLLLi0ELi2ELi0EEEviiP15ncclDevWorkColl.numbered_sgpr, 96
	.set .L_ZN12_GLOBAL__N_17runRingIh13FuncPreMulSumIhE7ProtoLLLi0ELi2ELi0EEEviiP15ncclDevWorkColl.num_named_barrier, 0
	.set .L_ZN12_GLOBAL__N_17runRingIh13FuncPreMulSumIhE7ProtoLLLi0ELi2ELi0EEEviiP15ncclDevWorkColl.private_seg_size, 220
	.set .L_ZN12_GLOBAL__N_17runRingIh13FuncPreMulSumIhE7ProtoLLLi0ELi2ELi0EEEviiP15ncclDevWorkColl.uses_vcc, 1
	.set .L_ZN12_GLOBAL__N_17runRingIh13FuncPreMulSumIhE7ProtoLLLi0ELi2ELi0EEEviiP15ncclDevWorkColl.uses_flat_scratch, 0
	.set .L_ZN12_GLOBAL__N_17runRingIh13FuncPreMulSumIhE7ProtoLLLi0ELi2ELi0EEEviiP15ncclDevWorkColl.has_dyn_sized_stack, 0
	.set .L_ZN12_GLOBAL__N_17runRingIh13FuncPreMulSumIhE7ProtoLLLi0ELi2ELi0EEEviiP15ncclDevWorkColl.has_recursion, 0
	.set .L_ZN12_GLOBAL__N_17runRingIh13FuncPreMulSumIhE7ProtoLLLi0ELi2ELi0EEEviiP15ncclDevWorkColl.has_indirect_call, 0
	.section	.AMDGPU.csdata,"",@progbits
; Function info:
; codeLenInByte = 8684
; TotalNumSgprs: 100
; NumVgprs: 64
; ScratchSize: 220
; MemoryBound: 0
	.text
	.p2align	2                               ; -- Begin function _Z52ncclDevFunc_ReduceScatter_RING_LL_PreMulSum_u8_0_0_2v
	.type	_Z52ncclDevFunc_ReduceScatter_RING_LL_PreMulSum_u8_0_0_2v,@function
_Z52ncclDevFunc_ReduceScatter_RING_LL_PreMulSum_u8_0_0_2v: ; @_Z52ncclDevFunc_ReduceScatter_RING_LL_PreMulSum_u8_0_0_2v
; %bb.0:
	s_waitcnt vmcnt(0) expcnt(0) lgkmcnt(0)
	s_mov_b32 s4, s33
	s_mov_b32 s33, s32
	s_or_saveexec_b64 s[6:7], -1
	buffer_store_dword v43, off, s[0:3], s33 offset:16 ; 4-byte Folded Spill
	s_mov_b64 exec, s[6:7]
	v_writelane_b32 v43, s4, 10
	s_addk_i32 s32, 0x800
	buffer_store_dword v40, off, s[0:3], s33 offset:12 ; 4-byte Folded Spill
	buffer_store_dword v41, off, s[0:3], s33 offset:8 ; 4-byte Folded Spill
	;; [unrolled: 1-line block ×3, first 2 shown]
	buffer_store_dword v63, off, s[0:3], s33 ; 4-byte Folded Spill
	v_writelane_b32 v43, s34, 0
	v_writelane_b32 v43, s35, 1
	;; [unrolled: 1-line block ×10, first 2 shown]
	s_trap 2
	ds_read_b32 v0, v0
	v_mov_b32_e32 v40, v31
	v_and_b32_e32 v41, 0x3ff, v40
	s_mov_b32 s38, s12
	s_mov_b64 s[36:37], s[8:9]
	s_waitcnt lgkmcnt(0)
	v_cmp_lt_i32_e32 vcc, v41, v0
	s_and_saveexec_b64 s[4:5], vcc
	s_cbranch_execz .LBB3_5
; %bb.1:
	s_load_dword s6, s[36:37], 0x0
	v_mov_b32_e32 v1, 0
	s_mov_b32 s10, 0
	v_mov_b32_e32 v4, v41
                                        ; implicit-def: $vgpr3
	s_waitcnt lgkmcnt(0)
	s_cmp_lt_u32 s38, s6
	s_cselect_b32 s6, 12, 18
	s_add_u32 s6, s36, s6
	s_addc_u32 s7, s37, 0
	global_load_ushort v1, v1, s[6:7]
	s_trap 2
	ds_read_b32 v2, v0
	s_mov_b64 s[6:7], 0
	s_waitcnt vmcnt(0) lgkmcnt(0)
	v_mul_lo_u32 v2, v2, v1
	s_branch .LBB3_3
.LBB3_2:                                ;   in Loop: Header=BB3_3 Depth=1
	s_or_b64 exec, exec, s[8:9]
	v_add_u32_e32 v4, v4, v1
	v_cmp_ge_i32_e32 vcc, v4, v0
	s_or_b64 s[6:7], vcc, s[6:7]
	v_add_u32_e32 v3, v3, v2
	s_andn2_b64 exec, exec, s[6:7]
	s_cbranch_execz .LBB3_5
.LBB3_3:                                ; =>This Inner Loop Header: Depth=1
	ds_read_b32 v5, v3
	s_waitcnt lgkmcnt(0)
	v_and_b32_e32 v5, 0x1000000, v5
	v_cmp_ne_u32_e32 vcc, 0, v5
	s_and_saveexec_b64 s[8:9], vcc
	s_cbranch_execz .LBB3_2
; %bb.4:                                ;   in Loop: Header=BB3_3 Depth=1
	ds_read_b64 v[5:6], v3 offset:104
	s_waitcnt lgkmcnt(0)
	flat_load_ubyte v5, v[5:6]
	v_mov_b32_e32 v6, s10
	s_waitcnt vmcnt(0) lgkmcnt(0)
	v_and_b32_e32 v5, 0xffff, v5
	ds_write_b64 v3, v[5:6] offset:104
	s_branch .LBB3_2
.LBB3_5:
	s_or_b64 exec, exec, s[4:5]
	s_waitcnt vmcnt(0) lgkmcnt(0)
	s_barrier
	s_trap 2
	ds_read_b32 v0, v0
	s_waitcnt lgkmcnt(0)
	v_cmp_gt_i32_e32 vcc, 1, v0
	s_cbranch_vccnz .LBB3_13
; %bb.6:
	s_mov_b32 s39, 0
	v_mov_b32_e32 v42, 6
	s_branch .LBB3_8
.LBB3_7:                                ;   in Loop: Header=BB3_8 Depth=1
	s_or_b64 exec, exec, s[48:49]
	s_trap 2
	ds_read_b32 v0, v0
	s_add_i32 s39, s39, 1
	s_waitcnt lgkmcnt(0)
	v_cmp_lt_i32_e32 vcc, s39, v0
	s_cbranch_vccz .LBB3_13
.LBB3_8:                                ; =>This Inner Loop Header: Depth=1
	s_trap 2
	ds_read_b32 v0, v0
	s_cmp_eq_u32 s39, 0
	s_cbranch_scc1 .LBB3_11
; %bb.9:                                ;   in Loop: Header=BB3_8 Depth=1
	s_trap 2
	s_waitcnt lgkmcnt(0)
	ds_read_b32 v1, v0
	s_waitcnt lgkmcnt(0)
	v_xor_b32_e32 v1, v1, v0
	v_and_b32_e32 v1, 0xff0000, v1
	v_cmp_eq_u32_e32 vcc, 0, v1
	s_cbranch_vccnz .LBB3_11
; %bb.10:                               ;   in Loop: Header=BB3_8 Depth=1
	s_barrier
	ds_read_b32 v0, v0
.LBB3_11:                               ;   in Loop: Header=BB3_8 Depth=1
	s_waitcnt lgkmcnt(0)
	v_lshlrev_b32_sdwa v1, v42, v0 dst_sel:DWORD dst_unused:UNUSED_PAD src0_sel:DWORD src1_sel:BYTE_2
	v_cmp_lt_u32_e32 vcc, v41, v1
	s_and_saveexec_b64 s[48:49], vcc
	s_cbranch_execz .LBB3_7
; %bb.12:                               ;   in Loop: Header=BB3_8 Depth=1
	s_mov_b64 s[4:5], src_shared_base
	s_getpc_b64 s[6:7]
	s_add_u32 s6, s6, _ZN12_GLOBAL__N_17runRingIh13FuncPreMulSumIhE7ProtoLLLi0ELi2ELi0EEEviiP15ncclDevWorkColl@rel32@lo+4
	s_addc_u32 s7, s7, _ZN12_GLOBAL__N_17runRingIh13FuncPreMulSumIhE7ProtoLLLi0ELi2ELi0EEEviiP15ncclDevWorkColl@rel32@hi+12
	s_mov_b64 s[8:9], s[36:37]
	s_mov_b32 s12, s38
	v_mov_b32_e32 v31, v40
	v_mov_b32_e32 v0, v41
	;; [unrolled: 1-line block ×3, first 2 shown]
	s_swappc_b64 s[30:31], s[6:7]
	s_branch .LBB3_7
.LBB3_13:
	buffer_load_dword v63, off, s[0:3], s33 ; 4-byte Folded Reload
	buffer_load_dword v42, off, s[0:3], s33 offset:4 ; 4-byte Folded Reload
	buffer_load_dword v41, off, s[0:3], s33 offset:8 ; 4-byte Folded Reload
	;; [unrolled: 1-line block ×3, first 2 shown]
	v_readlane_b32 s30, v43, 8
	v_readlane_b32 s31, v43, 9
	;; [unrolled: 1-line block ×10, first 2 shown]
	s_mov_b32 s32, s33
	v_readlane_b32 s4, v43, 10
	s_or_saveexec_b64 s[6:7], -1
	buffer_load_dword v43, off, s[0:3], s33 offset:16 ; 4-byte Folded Reload
	s_mov_b64 exec, s[6:7]
	s_mov_b32 s33, s4
	s_waitcnt vmcnt(0)
	s_setpc_b64 s[30:31]
.Lfunc_end3:
	.size	_Z52ncclDevFunc_ReduceScatter_RING_LL_PreMulSum_u8_0_0_2v, .Lfunc_end3-_Z52ncclDevFunc_ReduceScatter_RING_LL_PreMulSum_u8_0_0_2v
                                        ; -- End function
	.set .L_Z52ncclDevFunc_ReduceScatter_RING_LL_PreMulSum_u8_0_0_2v.num_vgpr, max(64, .L_ZN12_GLOBAL__N_17runRingIh13FuncPreMulSumIhE7ProtoLLLi0ELi2ELi0EEEviiP15ncclDevWorkColl.num_vgpr)
	.set .L_Z52ncclDevFunc_ReduceScatter_RING_LL_PreMulSum_u8_0_0_2v.num_agpr, max(0, .L_ZN12_GLOBAL__N_17runRingIh13FuncPreMulSumIhE7ProtoLLLi0ELi2ELi0EEEviiP15ncclDevWorkColl.num_agpr)
	.set .L_Z52ncclDevFunc_ReduceScatter_RING_LL_PreMulSum_u8_0_0_2v.numbered_sgpr, max(50, .L_ZN12_GLOBAL__N_17runRingIh13FuncPreMulSumIhE7ProtoLLLi0ELi2ELi0EEEviiP15ncclDevWorkColl.numbered_sgpr)
	.set .L_Z52ncclDevFunc_ReduceScatter_RING_LL_PreMulSum_u8_0_0_2v.num_named_barrier, max(0, .L_ZN12_GLOBAL__N_17runRingIh13FuncPreMulSumIhE7ProtoLLLi0ELi2ELi0EEEviiP15ncclDevWorkColl.num_named_barrier)
	.set .L_Z52ncclDevFunc_ReduceScatter_RING_LL_PreMulSum_u8_0_0_2v.private_seg_size, 32+max(.L_ZN12_GLOBAL__N_17runRingIh13FuncPreMulSumIhE7ProtoLLLi0ELi2ELi0EEEviiP15ncclDevWorkColl.private_seg_size)
	.set .L_Z52ncclDevFunc_ReduceScatter_RING_LL_PreMulSum_u8_0_0_2v.uses_vcc, or(1, .L_ZN12_GLOBAL__N_17runRingIh13FuncPreMulSumIhE7ProtoLLLi0ELi2ELi0EEEviiP15ncclDevWorkColl.uses_vcc)
	.set .L_Z52ncclDevFunc_ReduceScatter_RING_LL_PreMulSum_u8_0_0_2v.uses_flat_scratch, or(0, .L_ZN12_GLOBAL__N_17runRingIh13FuncPreMulSumIhE7ProtoLLLi0ELi2ELi0EEEviiP15ncclDevWorkColl.uses_flat_scratch)
	.set .L_Z52ncclDevFunc_ReduceScatter_RING_LL_PreMulSum_u8_0_0_2v.has_dyn_sized_stack, or(0, .L_ZN12_GLOBAL__N_17runRingIh13FuncPreMulSumIhE7ProtoLLLi0ELi2ELi0EEEviiP15ncclDevWorkColl.has_dyn_sized_stack)
	.set .L_Z52ncclDevFunc_ReduceScatter_RING_LL_PreMulSum_u8_0_0_2v.has_recursion, or(1, .L_ZN12_GLOBAL__N_17runRingIh13FuncPreMulSumIhE7ProtoLLLi0ELi2ELi0EEEviiP15ncclDevWorkColl.has_recursion)
	.set .L_Z52ncclDevFunc_ReduceScatter_RING_LL_PreMulSum_u8_0_0_2v.has_indirect_call, or(0, .L_ZN12_GLOBAL__N_17runRingIh13FuncPreMulSumIhE7ProtoLLLi0ELi2ELi0EEEviiP15ncclDevWorkColl.has_indirect_call)
	.section	.AMDGPU.csdata,"",@progbits
; Function info:
; codeLenInByte = 768
; TotalNumSgprs: 100
; NumVgprs: 64
; ScratchSize: 252
; MemoryBound: 0
	.text
	.p2align	2                               ; -- Begin function _ZN12_GLOBAL__N_17runRingIh13FuncPreMulSumIhE7ProtoLLLi0ELi4ELi0EEEviiP15ncclDevWorkColl
	.type	_ZN12_GLOBAL__N_17runRingIh13FuncPreMulSumIhE7ProtoLLLi0ELi4ELi0EEEviiP15ncclDevWorkColl,@function
_ZN12_GLOBAL__N_17runRingIh13FuncPreMulSumIhE7ProtoLLLi0ELi4ELi0EEEviiP15ncclDevWorkColl: ; @_ZN12_GLOBAL__N_17runRingIh13FuncPreMulSumIhE7ProtoLLLi0ELi4ELi0EEEviiP15ncclDevWorkColl
; %bb.0:
	s_waitcnt vmcnt(0) expcnt(0) lgkmcnt(0)
	s_or_saveexec_b64 s[4:5], -1
	buffer_store_dword v63, off, s[0:3], s32 offset:212 ; 4-byte Folded Spill
	s_mov_b64 exec, s[4:5]
	buffer_store_dword v40, off, s[0:3], s32 offset:56 ; 4-byte Folded Spill
	buffer_store_dword v41, off, s[0:3], s32 offset:52 ; 4-byte Folded Spill
	buffer_store_dword v42, off, s[0:3], s32 offset:48 ; 4-byte Folded Spill
	buffer_store_dword v43, off, s[0:3], s32 offset:44 ; 4-byte Folded Spill
	buffer_store_dword v44, off, s[0:3], s32 offset:40 ; 4-byte Folded Spill
	buffer_store_dword v45, off, s[0:3], s32 offset:36 ; 4-byte Folded Spill
	buffer_store_dword v46, off, s[0:3], s32 offset:32 ; 4-byte Folded Spill
	buffer_store_dword v47, off, s[0:3], s32 offset:28 ; 4-byte Folded Spill
	buffer_store_dword v56, off, s[0:3], s32 offset:24 ; 4-byte Folded Spill
	buffer_store_dword v57, off, s[0:3], s32 offset:20 ; 4-byte Folded Spill
	buffer_store_dword v58, off, s[0:3], s32 offset:16 ; 4-byte Folded Spill
	buffer_store_dword v59, off, s[0:3], s32 offset:12 ; 4-byte Folded Spill
	buffer_store_dword v60, off, s[0:3], s32 offset:8 ; 4-byte Folded Spill
	buffer_store_dword v61, off, s[0:3], s32 offset:4 ; 4-byte Folded Spill
	buffer_store_dword v62, off, s[0:3], s32 ; 4-byte Folded Spill
	v_writelane_b32 v63, s34, 0
	v_writelane_b32 v63, s35, 1
	;; [unrolled: 1-line block ×4, first 2 shown]
	v_mov_b32_e32 v29, v1
	v_mov_b32_e32 v4, v0
	s_trap 2
	flat_load_dword v8, v[2:3]
	flat_load_dwordx4 v[32:35], v[2:3] offset:72
	flat_load_dwordx2 v[0:1], v[2:3] offset:88
	s_waitcnt vmcnt(0) lgkmcnt(0)
	v_not_b32_sdwa v7, v8 dst_sel:DWORD dst_unused:UNUSED_PAD src0_sel:BYTE_0
	v_add_u32_sdwa v5, v8, v7 dst_sel:DWORD dst_unused:UNUSED_PAD src0_sel:BYTE_1 src1_sel:DWORD
	ds_read_b32 v6, v0
	ds_read_b64 v[23:24], v0
	v_ashrrev_i32_e32 v9, 31, v5
	v_mul_lo_u32 v10, v35, v5
	v_mad_u64_u32 v[17:18], s[4:5], v34, v5, 0
	v_mul_lo_u32 v5, v34, v9
	s_waitcnt lgkmcnt(1)
	v_readfirstlane_b32 s20, v6
	v_cmp_ne_u32_sdwa s[4:5], v6, v8 src0_sel:DWORD src1_sel:BYTE_0
	v_add3_u32 v5, v18, v5, v10
                                        ; implicit-def: $vgpr18_vgpr19
                                        ; implicit-def: $vgpr9_vgpr10
                                        ; kill: killed $vgpr9_vgpr10
	s_and_saveexec_b64 s[6:7], s[4:5]
	s_xor_b64 s[4:5], exec, s[6:7]
	s_cbranch_execz .LBB4_6
; %bb.1:
	v_cmp_ne_u32_sdwa s[6:7], v6, v8 src0_sel:DWORD src1_sel:BYTE_1
                                        ; implicit-def: $vgpr18_vgpr19
                                        ; implicit-def: $vgpr8_vgpr9
                                        ; kill: killed $vgpr8_vgpr9
	s_and_saveexec_b64 s[10:11], s[6:7]
	s_xor_b64 s[6:7], exec, s[10:11]
	s_cbranch_execz .LBB4_3
; %bb.2:
	flat_load_dwordx2 v[8:9], v[2:3] offset:96
	v_add_u32_e32 v6, v6, v7
	v_ashrrev_i32_e32 v7, 31, v6
	v_mul_lo_u32 v7, v34, v7
	v_mul_lo_u32 v10, v35, v6
	v_mad_u64_u32 v[11:12], s[10:11], v34, v6, v[32:33]
	v_add3_u32 v12, v10, v12, v7
	buffer_store_dword v11, off, s[0:3], s32 offset:116 ; 4-byte Folded Spill
	s_nop 0
	buffer_store_dword v12, off, s[0:3], s32 offset:120 ; 4-byte Folded Spill
	s_waitcnt vmcnt(0) lgkmcnt(0)
	v_lshrrev_b64 v[18:19], 17, v[8:9]
.LBB4_3:
	s_andn2_saveexec_b64 s[6:7], s[6:7]
	s_cbranch_execz .LBB4_5
; %bb.4:
	flat_load_dword v6, v[2:3] offset:100
	v_add_co_u32_e32 v7, vcc, v17, v32
	v_mov_b32_e32 v35, v1
	v_addc_co_u32_e32 v8, vcc, v5, v33, vcc
	v_mov_b32_e32 v34, v0
	buffer_store_dword v7, off, s[0:3], s32 offset:116 ; 4-byte Folded Spill
	s_nop 0
	buffer_store_dword v8, off, s[0:3], s32 offset:120 ; 4-byte Folded Spill
	s_waitcnt vmcnt(0) lgkmcnt(0)
	v_lshrrev_b32_e32 v18, 6, v6
.LBB4_5:
	s_or_b64 exec, exec, s[6:7]
.LBB4_6:
	s_andn2_saveexec_b64 s[4:5], s[4:5]
	s_cbranch_execz .LBB4_8
; %bb.7:
	flat_load_dwordx2 v[6:7], v[2:3] offset:96
	v_mov_b32_e32 v35, v33
	v_mov_b32_e32 v34, v32
	s_waitcnt vmcnt(0) lgkmcnt(0)
	v_lshlrev_b64 v[18:19], 4, v[6:7]
	v_mov_b32_e32 v6, 0
	v_mov_b32_e32 v7, 0
	buffer_store_dword v6, off, s[0:3], s32 offset:116 ; 4-byte Folded Spill
	s_nop 0
	buffer_store_dword v7, off, s[0:3], s32 offset:120 ; 4-byte Folded Spill
.LBB4_8:
	s_or_b64 exec, exec, s[4:5]
	flat_load_dwordx2 v[27:28], v[2:3] offset:104
	flat_load_ushort v7, v[2:3] offset:8
	flat_load_dword v6, v[2:3] offset:4
	flat_load_dwordx4 v[8:11], v[2:3] offset:16
	s_load_dword s4, s[8:9], 0x0
	v_mov_b32_e32 v3, 0
	s_mov_b32 s6, 0
	s_waitcnt vmcnt(0) lgkmcnt(0)
	buffer_store_dword v8, off, s[0:3], s32 offset:148 ; 4-byte Folded Spill
	s_nop 0
	buffer_store_dword v9, off, s[0:3], s32 offset:152 ; 4-byte Folded Spill
	buffer_store_dword v10, off, s[0:3], s32 offset:156 ; 4-byte Folded Spill
	;; [unrolled: 1-line block ×3, first 2 shown]
	s_cmp_lt_u32 s12, s4
	s_cselect_b32 s4, 12, 18
	s_add_u32 s4, s8, s4
	s_addc_u32 s5, s9, 0
	global_load_ushort v19, v3, s[4:5]
	s_trap 2
	ds_read_b32 v2, v0
	v_lshrrev_b64 v[6:7], 31, v[6:7]
	v_mov_b32_e32 v11, 0
	v_and_b32_e32 v7, 3, v6
	v_and_b32_e32 v6, 63, v4
	s_waitcnt lgkmcnt(0)
	v_cmp_gt_i32_e32 vcc, 0, v2
	v_readfirstlane_b32 s8, v2
	v_mov_b32_e32 v12, 0
	v_cmp_eq_u32_e64 s[4:5], 0, v6
	s_cbranch_vccnz .LBB4_10
; %bb.9:
	s_trap 2
	ds_read_b64 v[8:9], v0
	v_lshlrev_b64 v[2:3], 3, v[2:3]
	s_movk_i32 s6, 0xa8
	s_waitcnt lgkmcnt(0)
	v_add_co_u32_e32 v2, vcc, v8, v2
	v_addc_co_u32_e32 v3, vcc, v9, v3, vcc
	flat_load_dwordx2 v[2:3], v[2:3]
	v_and_b32_e32 v8, 0xffff, v7
	s_waitcnt vmcnt(0) lgkmcnt(0)
	v_mad_u64_u32 v[2:3], s[6:7], v8, s6, v[2:3]
	s_mov_b32 s6, 1
	flat_load_dwordx2 v[8:9], v[2:3] offset:504
	v_add_co_u32_e32 v25, vcc, 0x1f8, v2
	v_addc_co_u32_e32 v26, vcc, 0, v3, vcc
	s_waitcnt vmcnt(0) lgkmcnt(0)
	buffer_store_dword v8, off, s[0:3], s32 offset:72 ; 4-byte Folded Spill
	s_nop 0
	buffer_store_dword v9, off, s[0:3], s32 offset:76 ; 4-byte Folded Spill
	flat_load_dwordx2 v[36:37], v[2:3] offset:608
	v_cndmask_b32_e64 v3, 0, v26, s[4:5]
	v_cndmask_b32_e64 v2, 0, v25, s[4:5]
	s_branch .LBB4_11
.LBB4_10:
	v_mov_b32_e32 v25, 0
	v_mov_b32_e32 v2, 0
	;; [unrolled: 1-line block ×4, first 2 shown]
                                        ; implicit-def: $vgpr36_vgpr37
                                        ; implicit-def: $vgpr8_vgpr9
                                        ; kill: killed $vgpr8_vgpr9
.LBB4_11:
	s_trap 2
	ds_read_b32 v9, v0
	s_waitcnt lgkmcnt(0)
	v_cmp_gt_i32_e32 vcc, 0, v9
	s_cbranch_vccnz .LBB4_13
; %bb.12:
	s_trap 2
	ds_read_b64 v[11:12], v0
	v_mov_b32_e32 v10, 0
	v_lshlrev_b64 v[8:9], 3, v[9:10]
	v_and_b32_e32 v7, 0xffff, v7
	s_movk_i32 s4, 0xa8
	s_waitcnt lgkmcnt(0)
	v_add_co_u32_e32 v8, vcc, v11, v8
	v_addc_co_u32_e32 v9, vcc, v12, v9, vcc
	flat_load_dwordx2 v[8:9], v[8:9]
	v_cmp_eq_u32_e32 vcc, 0, v6
	s_waitcnt vmcnt(0) lgkmcnt(0)
	v_mad_u64_u32 v[11:12], s[4:5], v7, s4, v[8:9]
	flat_load_dwordx2 v[38:39], v[11:12]
	flat_load_dwordx2 v[21:22], v[11:12] offset:104
	v_cndmask_b32_e32 v10, 0, v12, vcc
	v_cndmask_b32_e32 v9, 0, v11, vcc
	s_branch .LBB4_14
.LBB4_13:
	v_mov_b32_e32 v9, 0
	v_mov_b32_e32 v10, 0
                                        ; implicit-def: $vgpr21_vgpr22
                                        ; implicit-def: $vgpr38_vgpr39
.LBB4_14:
	v_subrev_u32_e32 v7, 64, v29
	v_cmp_ge_i32_e32 vcc, v4, v7
	v_cmp_gt_u32_e64 s[4:5], s6, v6
	v_mov_b32_e32 v13, 0
	v_mov_b32_e32 v6, 0
	;; [unrolled: 1-line block ×4, first 2 shown]
	s_and_b64 s[22:23], vcc, s[4:5]
	buffer_store_dword v6, off, s[0:3], s32 offset:64 ; 4-byte Folded Spill
	s_nop 0
	buffer_store_dword v7, off, s[0:3], s32 offset:68 ; 4-byte Folded Spill
                                        ; implicit-def: $vgpr48_vgpr49
	s_and_saveexec_b64 s[4:5], s[22:23]
	s_cbranch_execz .LBB4_16
; %bb.15:
	flat_load_dwordx2 v[6:7], v[2:3] offset:56
	s_waitcnt vmcnt(0) lgkmcnt(0)
	buffer_store_dword v6, off, s[0:3], s32 offset:64 ; 4-byte Folded Spill
	s_nop 0
	buffer_store_dword v7, off, s[0:3], s32 offset:68 ; 4-byte Folded Spill
	flat_load_dwordx2 v[48:49], v[2:3] offset:104
.LBB4_16:
	s_or_b64 exec, exec, s[4:5]
	v_mov_b32_e32 v52, 0
	v_mov_b32_e32 v53, 0
	v_cmp_gt_u32_e64 s[4:5], s6, v4
                                        ; implicit-def: $vgpr54_vgpr55
	s_and_saveexec_b64 s[6:7], s[4:5]
	s_cbranch_execz .LBB4_18
; %bb.17:
	flat_load_dwordx2 v[52:53], v[9:10] offset:56
	s_waitcnt vmcnt(0) lgkmcnt(0)
	flat_load_dwordx2 v[54:55], v[52:53] glc
	s_waitcnt vmcnt(0)
	flat_load_dwordx4 v[13:16], v[9:10] offset:96
.LBB4_18:
	s_or_b64 exec, exec, s[6:7]
	v_mov_b32_e32 v44, 0
	v_cmp_ne_u64_e32 vcc, 0, v[34:35]
	v_mov_b32_e32 v45, 0
	s_and_saveexec_b64 s[24:25], vcc
	s_cbranch_execz .LBB4_210
; %bb.19:
	v_add_co_u32_e32 v0, vcc, v0, v32
	s_ashr_i32 s6, s8, 31
	v_addc_co_u32_e32 v1, vcc, v1, v33, vcc
	s_lshr_b32 s6, s6, 29
	v_add_co_u32_e32 v3, vcc, v0, v17
	s_ashr_i32 s21, s20, 31
	s_add_i32 s8, s8, s6
	v_addc_co_u32_e32 v0, vcc, v1, v5, vcc
	s_lshl_b64 s[6:7], s[20:21], 2
	buffer_store_dword v25, off, s[0:3], s32 offset:204 ; 4-byte Folded Spill
	s_nop 0
	buffer_store_dword v26, off, s[0:3], s32 offset:208 ; 4-byte Folded Spill
	buffer_store_dword v11, off, s[0:3], s32 offset:196 ; 4-byte Folded Spill
	s_nop 0
	buffer_store_dword v12, off, s[0:3], s32 offset:200 ; 4-byte Folded Spill
	buffer_store_dword v0, off, s[0:3], s32 offset:60 ; 4-byte Folded Spill
	v_mov_b32_e32 v0, s7
	v_add_co_u32_e32 v1, vcc, s6, v23
	v_addc_co_u32_e32 v0, vcc, v24, v0, vcc
	v_add_co_u32_e32 v5, vcc, -4, v1
	v_addc_co_u32_e32 v6, vcc, -1, v0, vcc
	v_and_b32_e32 v0, 63, v31
	v_cmp_eq_u32_e64 s[12:13], 0, v0
	v_lshrrev_b32_e32 v0, 6, v29
	buffer_store_dword v5, off, s[0:3], s32 offset:132 ; 4-byte Folded Spill
	s_nop 0
	buffer_store_dword v6, off, s[0:3], s32 offset:136 ; 4-byte Folded Spill
	s_waitcnt vmcnt(0)
	buffer_store_dword v19, off, s[0:3], s32 offset:192 ; 4-byte Folded Spill
	buffer_store_dword v31, off, s[0:3], s32 offset:188 ; 4-byte Folded Spill
	;; [unrolled: 1-line block ×3, first 2 shown]
	buffer_load_dword v8, off, s[0:3], s32 offset:148 ; 4-byte Folded Reload
	buffer_load_dword v9, off, s[0:3], s32 offset:152 ; 4-byte Folded Reload
	;; [unrolled: 1-line block ×4, first 2 shown]
	v_lshlrev_b32_e32 v5, 3, v4
	v_mov_b32_e32 v2, 0
	s_ashr_i32 s10, s8, 3
	v_lshlrev_b64 v[56:57], 24, v[27:28]
	s_ashr_i32 s92, s8, 7
	s_and_b32 s21, s10, -16
	v_lshlrev_b64 v[57:58], 16, v[27:28]
	v_mov_b32_e32 v30, v2
	v_cmp_ne_u64_e64 s[6:7], 0, v[52:53]
	s_waitcnt lgkmcnt(0)
	v_cmp_ne_u64_e64 s[8:9], 0, v[13:14]
	v_lshlrev_b64 v[46:47], 8, v[27:28]
	s_cmp_gt_i32 s20, 2
	v_mov_b32_e32 v58, 0
	v_mov_b32_e32 v44, 0
	v_and_b32_e32 v41, 0x1fffff0, v18
	s_mov_b32 s27, 0
	v_mov_b32_e32 v42, v2
	s_mov_b64 s[28:29], 0
	v_cmp_ne_u32_e64 s[10:11], 64, v29
	v_cmp_ne_u32_sdwa s[40:41], v29, v19 src0_sel:DWORD src1_sel:WORD_0
	v_lshlrev_b32_e32 v7, 3, v29
	s_cselect_b64 s[42:43], -1, 0
	v_lshlrev_b32_e32 v28, 6, v29
	s_mov_b64 s[44:45], 0x7ffffff8
	s_mov_b32 s93, 0xff00
	s_mov_b32 s94, 0xc060c00
	;; [unrolled: 1-line block ×3, first 2 shown]
	s_movk_i32 s30, 0xff
	s_mov_b32 s31, 0x7020500
	s_mov_b32 s34, 0x70c010c
	v_mov_b32_e32 v47, 0
	v_mov_b32_e32 v59, 0
	;; [unrolled: 1-line block ×3, first 2 shown]
	s_waitcnt vmcnt(1)
	v_add_co_u32_e32 v0, vcc, v10, v5
	buffer_store_dword v0, off, s[0:3], s32 offset:164 ; 4-byte Folded Spill
	s_waitcnt vmcnt(1)
	v_addc_co_u32_e32 v0, vcc, 0, v11, vcc
	buffer_store_dword v0, off, s[0:3], s32 offset:168 ; 4-byte Folded Spill
	buffer_load_dword v0, off, s[0:3], s32 offset:64 ; 4-byte Folded Reload
	s_nop 0
	buffer_load_dword v1, off, s[0:3], s32 offset:68 ; 4-byte Folded Reload
	s_waitcnt vmcnt(0)
	v_cmp_ne_u64_e64 s[14:15], 0, v[0:1]
	v_add_co_u32_e32 v0, vcc, v8, v5
	buffer_store_dword v0, off, s[0:3], s32 offset:172 ; 4-byte Folded Spill
	v_addc_co_u32_e32 v0, vcc, 0, v9, vcc
	buffer_store_dword v0, off, s[0:3], s32 offset:176 ; 4-byte Folded Spill
	buffer_load_dword v0, off, s[0:3], s32 offset:116 ; 4-byte Folded Reload
	s_nop 0
	buffer_load_dword v1, off, s[0:3], s32 offset:120 ; 4-byte Folded Reload
	v_mov_b32_e32 v8, v34
	buffer_store_dword v5, off, s[0:3], s32 offset:112 ; 4-byte Folded Spill
	v_mov_b32_e32 v9, v35
	s_waitcnt vmcnt(2)
	v_add_co_u32_e32 v0, vcc, v0, v10
	s_waitcnt vmcnt(1)
	v_addc_co_u32_e32 v1, vcc, v1, v11, vcc
	v_add_co_u32_e32 v60, vcc, v0, v5
	v_mov_b32_e32 v5, v2
	v_addc_co_u32_e32 v61, vcc, 0, v1, vcc
	v_lshlrev_b64 v[0:1], 4, v[4:5]
	v_lshlrev_b64 v[5:6], 4, v[29:30]
	v_add_co_u32_e32 v0, vcc, v38, v0
	buffer_store_dword v0, off, s[0:3], s32 offset:180 ; 4-byte Folded Spill
	v_addc_co_u32_e32 v0, vcc, v39, v1, vcc
	buffer_store_dword v0, off, s[0:3], s32 offset:184 ; 4-byte Folded Spill
	buffer_store_dword v6, off, s[0:3], s32 offset:96 ; 4-byte Folded Spill
	s_nop 0
	buffer_store_dword v7, off, s[0:3], s32 offset:100 ; 4-byte Folded Spill
	buffer_store_dword v8, off, s[0:3], s32 offset:104 ; 4-byte Folded Spill
	;; [unrolled: 1-line block ×4, first 2 shown]
	s_nop 0
	buffer_store_dword v42, off, s[0:3], s32 offset:128 ; 4-byte Folded Spill
	s_branch .LBB4_21
.LBB4_20:                               ;   in Loop: Header=BB4_21 Depth=1
	s_or_b64 exec, exec, s[16:17]
	v_add_co_u32_e32 v36, vcc, 1, v36
	v_addc_co_u32_e32 v37, vcc, 0, v37, vcc
	s_waitcnt vmcnt(0)
	v_add_co_u32_e32 v58, vcc, v58, v41
	v_addc_co_u32_e32 v59, vcc, 0, v59, vcc
	v_add_co_u32_e32 v60, vcc, v60, v41
	v_addc_co_u32_e32 v61, vcc, 0, v61, vcc
	v_cmp_ge_u64_e32 vcc, v[58:59], v[34:35]
	s_or_b64 s[28:29], vcc, s[28:29]
	s_andn2_b64 exec, exec, s[28:29]
	s_cbranch_execz .LBB4_209
.LBB4_21:                               ; =>This Loop Header: Depth=1
                                        ;     Child Loop BB4_26 Depth 2
                                        ;     Child Loop BB4_45 Depth 2
	;; [unrolled: 1-line block ×5, first 2 shown]
                                        ;       Child Loop BB4_75 Depth 3
                                        ;       Child Loop BB4_94 Depth 3
	;; [unrolled: 1-line block ×3, first 2 shown]
                                        ;         Child Loop BB4_118 Depth 4
                                        ;       Child Loop BB4_132 Depth 3
                                        ;       Child Loop BB4_141 Depth 3
                                        ;     Child Loop BB4_153 Depth 2
                                        ;       Child Loop BB4_161 Depth 3
                                        ;     Child Loop BB4_195 Depth 2
	s_waitcnt lgkmcnt(0)
	buffer_load_dword v0, off, s[0:3], s32 offset:132 ; 4-byte Folded Reload
	buffer_load_dword v1, off, s[0:3], s32 offset:136 ; 4-byte Folded Reload
	s_waitcnt vmcnt(0)
	flat_load_dword v17, v[0:1]
	v_sub_co_u32_e32 v0, vcc, v34, v58
	v_subb_co_u32_e32 v1, vcc, v35, v59, vcc
	v_cmp_lt_u64_e32 vcc, v[41:42], v[0:1]
	v_cndmask_b32_e32 v0, v0, v41, vcc
	v_lshl_add_u32 v1, v0, 1, 14
	v_and_b32_e32 v1, 0x7fffff0, v1
	buffer_store_dword v1, off, s[0:3], s32 offset:80 ; 4-byte Folded Spill
	s_and_saveexec_b64 s[18:19], s[6:7]
	s_cbranch_execz .LBB4_37
; %bb.22:                               ;   in Loop: Header=BB4_21 Depth=1
	v_add_co_u32_e32 v11, vcc, 1, v15
	v_addc_co_u32_e32 v12, vcc, 0, v16, vcc
	v_add_co_u32_e32 v8, vcc, 8, v54
	v_addc_co_u32_e32 v9, vcc, 0, v55, vcc
	v_cmp_lt_u64_e32 vcc, v[8:9], v[11:12]
	s_and_saveexec_b64 s[46:47], vcc
	s_cbranch_execz .LBB4_34
; %bb.23:                               ;   in Loop: Header=BB4_21 Depth=1
	s_mov_b32 s26, 0
	v_cmp_eq_u32_e32 vcc, 0, v47
	s_mov_b64 s[56:57], 0
                                        ; implicit-def: $sgpr58_sgpr59
                                        ; implicit-def: $sgpr60_sgpr61
                                        ; implicit-def: $sgpr62_sgpr63
	s_branch .LBB4_26
.LBB4_24:                               ;   in Loop: Header=BB4_26 Depth=2
	s_or_b64 exec, exec, s[88:89]
	s_andn2_b64 s[16:17], s[62:63], exec
	s_and_b64 s[62:63], s[76:77], exec
	s_or_b64 s[62:63], s[16:17], s[62:63]
	s_andn2_b64 s[16:17], s[60:61], exec
	s_and_b64 s[60:61], s[74:75], exec
	s_or_b64 s[60:61], s[16:17], s[60:61]
.LBB4_25:                               ;   in Loop: Header=BB4_26 Depth=2
	s_or_b64 exec, exec, s[72:73]
	s_and_b64 s[16:17], exec, s[60:61]
	s_or_b64 s[56:57], s[16:17], s[56:57]
	s_andn2_b64 s[16:17], s[58:59], exec
	s_and_b64 s[58:59], s[62:63], exec
	s_or_b64 s[58:59], s[16:17], s[58:59]
	s_andn2_b64 exec, exec, s[56:57]
	s_cbranch_execz .LBB4_31
.LBB4_26:                               ;   Parent Loop BB4_21 Depth=1
                                        ; =>  This Inner Loop Header: Depth=2
	s_sleep 1
	s_waitcnt vmcnt(0) lgkmcnt(0)
	flat_load_dwordx2 v[54:55], v[52:53] glc
	v_mov_b32_e32 v47, 1
	s_or_b64 s[62:63], s[62:63], exec
	s_or_b64 s[60:61], s[60:61], exec
                                        ; implicit-def: $vgpr1
	s_and_saveexec_b64 s[72:73], vcc
	s_cbranch_execz .LBB4_25
; %bb.27:                               ;   in Loop: Header=BB4_26 Depth=2
	s_add_i32 s26, s26, 1
	s_cmpk_lg_i32 s26, 0x2710
	s_cselect_b64 s[78:79], -1, 0
	s_cmpk_eq_i32 s26, 0x2710
	s_mov_b64 s[74:75], -1
	s_mov_b64 s[76:77], -1
                                        ; implicit-def: $vgpr1
	s_cbranch_scc1 .LBB4_29
; %bb.28:                               ;   in Loop: Header=BB4_26 Depth=2
	v_mov_b32_e32 v47, 1
	s_and_saveexec_b64 s[88:89], s[78:79]
	s_cbranch_execz .LBB4_24
	s_branch .LBB4_30
.LBB4_29:                               ;   in Loop: Header=BB4_26 Depth=2
	s_trap 2
	ds_read_b64 v[8:9], v0
	s_andn2_b64 s[78:79], s[78:79], exec
	s_mov_b32 s26, 0
	s_mov_b64 s[76:77], 0
	s_waitcnt vmcnt(0) lgkmcnt(0)
	flat_load_dword v1, v[8:9] glc
	s_waitcnt vmcnt(0) lgkmcnt(0)
	buffer_wbinvl1_vol
	v_cmp_eq_u32_e64 s[16:17], 0, v1
	s_and_b64 s[16:17], s[16:17], exec
	s_or_b64 s[78:79], s[78:79], s[16:17]
	v_mov_b32_e32 v47, 1
	s_and_saveexec_b64 s[88:89], s[78:79]
	s_cbranch_execz .LBB4_24
.LBB4_30:                               ;   in Loop: Header=BB4_26 Depth=2
	s_waitcnt vmcnt(0) lgkmcnt(0)
	v_add_co_u32_e64 v8, s[16:17], 8, v54
	v_addc_co_u32_e64 v9, s[16:17], 0, v55, s[16:17]
	v_cmp_ge_u64_e64 s[16:17], v[8:9], v[11:12]
	v_mov_b32_e32 v47, 0
	s_or_b64 s[76:77], s[76:77], exec
	s_orn2_b64 s[74:75], s[16:17], exec
	s_branch .LBB4_24
.LBB4_31:                               ;   in Loop: Header=BB4_21 Depth=1
	s_or_b64 exec, exec, s[56:57]
	s_xor_b64 s[16:17], s[58:59], -1
	s_and_saveexec_b64 s[56:57], s[16:17]
	s_xor_b64 s[16:17], exec, s[56:57]
	s_cbranch_execz .LBB4_33
; %bb.32:                               ;   in Loop: Header=BB4_21 Depth=1
	v_mov_b32_e32 v47, 1
	s_waitcnt lgkmcnt(0)
	ds_write_b32 v0, v1
	s_trap 2
.LBB4_33:                               ;   in Loop: Header=BB4_21 Depth=1
	s_or_b64 exec, exec, s[16:17]
.LBB4_34:                               ;   in Loop: Header=BB4_21 Depth=1
	s_or_b64 exec, exec, s[46:47]
	s_and_saveexec_b64 s[16:17], s[8:9]
	s_cbranch_execz .LBB4_36
; %bb.35:                               ;   in Loop: Header=BB4_21 Depth=1
	v_and_b32_e32 v1, 0x7ffffff8, v15
	v_cmp_eq_u64_e32 vcc, s[44:45], v[1:2]
	buffer_load_dword v1, off, s[0:3], s32 offset:80 ; 4-byte Folded Reload
	v_and_b32_e32 v8, 7, v15
	v_mad_u64_u32 v[8:9], s[46:47], v8, 24, v[13:14]
	v_mov_b32_e32 v10, s21
	s_waitcnt vmcnt(0)
	v_cndmask_b32_e32 v15, v1, v10, vcc
	v_ashrrev_i32_e32 v16, 31, v15
	flat_store_dwordx2 v[8:9], v[15:16] offset:8
	s_waitcnt vmcnt(0)
.LBB4_36:                               ;   in Loop: Header=BB4_21 Depth=1
	s_or_b64 exec, exec, s[16:17]
	v_mov_b32_e32 v16, v12
	v_mov_b32_e32 v15, v11
.LBB4_37:                               ;   in Loop: Header=BB4_21 Depth=1
	s_or_b64 exec, exec, s[18:19]
	s_and_saveexec_b64 s[16:17], s[10:11]
	s_cbranch_execz .LBB4_56
; %bb.38:                               ;   in Loop: Header=BB4_21 Depth=1
	s_and_saveexec_b64 s[18:19], s[40:41]
	s_xor_b64 s[18:19], exec, s[18:19]
	s_cbranch_execz .LBB4_53
; %bb.39:                               ;   in Loop: Header=BB4_21 Depth=1
	s_and_saveexec_b64 s[46:47], s[12:13]
	s_cbranch_execz .LBB4_52
; %bb.40:                               ;   in Loop: Header=BB4_21 Depth=1
	s_mov_b64 s[58:59], exec
	v_mbcnt_lo_u32_b32 v1, s58, 0
	v_mbcnt_hi_u32_b32 v1, s59, v1
	v_cmp_eq_u32_e32 vcc, 0, v1
	s_waitcnt vmcnt(0) lgkmcnt(0)
	buffer_wbinvl1_vol
	s_and_saveexec_b64 s[56:57], vcc
	s_cbranch_execz .LBB4_42
; %bb.41:                               ;   in Loop: Header=BB4_21 Depth=1
	s_bcnt1_i32_b64 s26, s[58:59]
	v_mov_b32_e32 v1, s26
	ds_add_u64 v0, v[1:2]
	s_trap 2
.LBB4_42:                               ;   in Loop: Header=BB4_21 Depth=1
	s_or_b64 exec, exec, s[56:57]
	s_trap 2
	ds_read_b64 v[8:9], v0
	s_waitcnt lgkmcnt(0)
	buffer_load_dword v1, off, s[0:3], s32 offset:84 ; 4-byte Folded Reload
	s_waitcnt vmcnt(0)
	v_add_co_u32_e32 v44, vcc, v44, v1
	v_addc_co_u32_e32 v45, vcc, 0, v45, vcc
	v_cmp_lt_u64_e32 vcc, v[8:9], v[44:45]
	s_and_saveexec_b64 s[56:57], vcc
	s_cbranch_execz .LBB4_51
; %bb.43:                               ;   in Loop: Header=BB4_21 Depth=1
	s_mov_b32 s26, 0
	s_mov_b64 s[58:59], 0
                                        ; implicit-def: $sgpr60_sgpr61
                                        ; implicit-def: $sgpr62_sgpr63
	s_branch .LBB4_45
.LBB4_44:                               ;   in Loop: Header=BB4_45 Depth=2
	s_or_b64 exec, exec, s[74:75]
	s_and_b64 s[72:73], exec, s[76:77]
	s_or_b64 s[58:59], s[72:73], s[58:59]
	s_andn2_b64 s[60:61], s[60:61], exec
	s_and_b64 s[72:73], s[62:63], exec
	s_or_b64 s[60:61], s[60:61], s[72:73]
	s_andn2_b64 exec, exec, s[58:59]
	s_cbranch_execz .LBB4_49
.LBB4_45:                               ;   Parent Loop BB4_21 Depth=1
                                        ; =>  This Inner Loop Header: Depth=2
	s_add_i32 s26, s26, 1
	s_cmpk_lg_i32 s26, 0x2710
	s_cselect_b64 s[72:73], -1, 0
	s_and_b64 vcc, exec, s[72:73]
	s_cbranch_vccz .LBB4_47
; %bb.46:                               ;   in Loop: Header=BB4_45 Depth=2
	s_mov_b64 s[76:77], -1
	s_or_b64 s[62:63], s[62:63], exec
	s_and_saveexec_b64 s[74:75], s[72:73]
	s_cbranch_execz .LBB4_44
	s_branch .LBB4_48
.LBB4_47:                               ;   in Loop: Header=BB4_45 Depth=2
	s_trap 2
	ds_read_b64 v[8:9], v0
	s_andn2_b64 s[72:73], s[72:73], exec
	s_mov_b32 s26, 0
	s_waitcnt lgkmcnt(0)
	flat_load_dword v1, v[8:9] glc
	s_waitcnt vmcnt(0) lgkmcnt(0)
	buffer_wbinvl1_vol
	v_cmp_eq_u32_e32 vcc, 0, v1
	s_and_b64 s[74:75], vcc, exec
	s_or_b64 s[72:73], s[72:73], s[74:75]
	s_mov_b64 s[76:77], -1
	s_or_b64 s[62:63], s[62:63], exec
	s_and_saveexec_b64 s[74:75], s[72:73]
	s_cbranch_execz .LBB4_44
.LBB4_48:                               ;   in Loop: Header=BB4_45 Depth=2
	s_sleep 1
	s_trap 2
	ds_read_b64 v[8:9], v0
	s_waitcnt lgkmcnt(0)
	s_andn2_b64 s[62:63], s[62:63], exec
	v_cmp_ge_u64_e32 vcc, v[8:9], v[44:45]
	s_orn2_b64 s[76:77], vcc, exec
	s_branch .LBB4_44
.LBB4_49:                               ;   in Loop: Header=BB4_21 Depth=1
	s_or_b64 exec, exec, s[58:59]
	s_and_saveexec_b64 s[58:59], s[60:61]
	s_xor_b64 s[58:59], exec, s[58:59]
	s_cbranch_execz .LBB4_51
; %bb.50:                               ;   in Loop: Header=BB4_21 Depth=1
	v_mov_b32_e32 v1, 1
	ds_write_b32 v0, v1
	s_trap 2
.LBB4_51:                               ;   in Loop: Header=BB4_21 Depth=1
	s_or_b64 exec, exec, s[56:57]
	;;#ASMSTART
	s_wakeup
	;;#ASMEND
.LBB4_52:                               ;   in Loop: Header=BB4_21 Depth=1
	s_or_b64 exec, exec, s[46:47]
.LBB4_53:                               ;   in Loop: Header=BB4_21 Depth=1
	s_andn2_saveexec_b64 s[18:19], s[18:19]
	s_cbranch_execz .LBB4_55
; %bb.54:                               ;   in Loop: Header=BB4_21 Depth=1
	s_waitcnt vmcnt(0) lgkmcnt(0)
	buffer_wbinvl1_vol
	s_barrier
.LBB4_55:                               ;   in Loop: Header=BB4_21 Depth=1
	s_or_b64 exec, exec, s[18:19]
.LBB4_56:                               ;   in Loop: Header=BB4_21 Depth=1
	s_or_b64 exec, exec, s[16:17]
	buffer_load_dword v1, off, s[0:3], s32 offset:112 ; 4-byte Folded Reload
	v_and_b32_e32 v8, 7, v21
	v_add_u32_e32 v18, 1, v21
	s_waitcnt vmcnt(0)
	v_sub_u32_e32 v62, v0, v1
	v_cmp_lt_i32_e64 s[16:17], 0, v62
	v_mov_b32_e32 v0, v4
	s_and_saveexec_b64 s[18:19], s[16:17]
	s_cbranch_execz .LBB4_64
; %bb.57:                               ;   in Loop: Header=BB4_21 Depth=1
	buffer_load_dword v9, off, s[0:3], s32 offset:60 ; 4-byte Folded Reload
	s_waitcnt lgkmcnt(0)
	v_ashrrev_i32_e32 v1, 31, v17
	v_mad_u64_u32 v[11:12], s[46:47], v3, v17, v[60:61]
	v_mul_lo_u32 v10, v3, v1
	v_mul_lo_u32 v0, v8, s92
	s_mov_b64 s[46:47], 0
	v_ashrrev_i32_e32 v1, 31, v0
	v_lshlrev_b64 v[0:1], 4, v[0:1]
	s_waitcnt vmcnt(0)
	v_mul_lo_u32 v9, v9, v17
	v_mul_lo_u32 v17, v3, v17
	v_add3_u32 v12, v9, v12, v10
	buffer_load_dword v10, off, s[0:3], s32 offset:180 ; 4-byte Folded Reload
	v_add_lshl_u32 v9, v60, v17, 3
	s_waitcnt vmcnt(0)
	v_add_co_u32_e32 v32, vcc, v10, v0
	buffer_load_dword v0, off, s[0:3], s32 offset:184 ; 4-byte Folded Reload
	v_mov_b32_e32 v10, v62
	s_waitcnt vmcnt(0)
	v_addc_co_u32_e32 v33, vcc, v0, v1, vcc
	v_mov_b32_e32 v0, v4
	s_branch .LBB4_59
.LBB4_58:                               ;   in Loop: Header=BB4_59 Depth=2
	s_or_b64 exec, exec, s[56:57]
	s_waitcnt vmcnt(0)
	v_alignbit_b32 v1, v26, v17, v9
	v_alignbit_b32 v19, v25, v26, v9
	v_lshrrev_b32_e32 v25, 16, v1
	v_lshrrev_b32_e32 v17, 8, v1
	v_mul_lo_u32 v20, v27, v1
	v_lshrrev_b32_e32 v1, 24, v1
	v_mul_lo_u32 v25, v57, v25
	v_mul_lo_u32 v17, v46, v17
	v_lshrrev_b32_e32 v26, 8, v19
	v_mul_lo_u32 v1, v56, v1
	v_mul_lo_u32 v30, v27, v19
	v_lshrrev_b32_e32 v31, 24, v19
	v_lshrrev_b32_e32 v19, 16, v19
	v_mul_lo_u32 v19, v57, v19
	v_mul_lo_u32 v26, v46, v26
	;; [unrolled: 1-line block ×3, first 2 shown]
	v_perm_b32 v20, v25, v20, s94
	v_and_b32_e32 v17, 0xff00, v17
	v_and_or_b32 v1, v1, s95, v20
	v_or3_b32 v17, v1, v17, 0
	v_perm_b32 v1, v19, v30, s94
	v_add_co_u32_e32 v11, vcc, v11, v7
	v_and_b32_e32 v26, 0xff00, v26
	v_and_or_b32 v1, v31, s95, v1
	v_sub_u32_e32 v10, v10, v7
	v_addc_co_u32_e32 v12, vcc, 0, v12, vcc
	v_or3_b32 v19, v1, v26, 0
	v_mov_b32_e32 v20, v18
	v_cmp_gt_i32_e32 vcc, 1, v10
	global_store_dwordx4 v[32:33], v[17:20], off
	s_or_b64 s[46:47], vcc, s[46:47]
	v_add_co_u32_e32 v32, vcc, v32, v5
	v_add_u32_e32 v0, v0, v29
	v_add_u32_e32 v9, v9, v28
	v_addc_co_u32_e32 v33, vcc, v33, v6, vcc
	s_andn2_b64 exec, exec, s[46:47]
	s_cbranch_execz .LBB4_63
.LBB4_59:                               ;   Parent Loop BB4_21 Depth=1
                                        ; =>  This Inner Loop Header: Depth=2
	v_and_b32_e32 v19, -4, v11
	v_mov_b32_e32 v20, v12
	global_load_dword v17, v[19:20], off glc slc
	v_min_u32_e32 v1, 8, v10
	v_and_b32_e32 v25, 3, v11
	v_add_u32_e32 v1, v25, v1
	v_cmp_lt_u32_e32 vcc, 4, v1
	v_mov_b32_e32 v25, 0
	v_mov_b32_e32 v26, 0
	s_and_saveexec_b64 s[56:57], vcc
	s_cbranch_execz .LBB4_61
; %bb.60:                               ;   in Loop: Header=BB4_59 Depth=2
	global_load_dword v26, v[19:20], off offset:4 glc slc
.LBB4_61:                               ;   in Loop: Header=BB4_59 Depth=2
	s_or_b64 exec, exec, s[56:57]
	v_cmp_lt_u64_e32 vcc, 8, v[1:2]
	s_and_saveexec_b64 s[56:57], vcc
	s_cbranch_execz .LBB4_58
; %bb.62:                               ;   in Loop: Header=BB4_59 Depth=2
	global_load_dword v25, v[19:20], off offset:8 glc slc
	s_branch .LBB4_58
.LBB4_63:                               ;   in Loop: Header=BB4_21 Depth=1
	s_or_b64 exec, exec, s[46:47]
	buffer_load_dword v32, off, s[0:3], s32 offset:96 ; 4-byte Folded Reload
	buffer_load_dword v33, off, s[0:3], s32 offset:100 ; 4-byte Folded Reload
	buffer_load_dword v34, off, s[0:3], s32 offset:104 ; 4-byte Folded Reload
	buffer_load_dword v35, off, s[0:3], s32 offset:108 ; 4-byte Folded Reload
.LBB4_64:                               ;   in Loop: Header=BB4_21 Depth=1
	s_or_b64 exec, exec, s[18:19]
	v_and_b32_e32 v1, 0x7ffffff8, v21
	v_cmp_eq_u64_e32 vcc, s[44:45], v[1:2]
	v_cmp_gt_i32_e64 s[18:19], s92, v0
	s_and_b64 s[18:19], vcc, s[18:19]
	s_and_saveexec_b64 s[46:47], s[18:19]
	s_cbranch_execz .LBB4_67
; %bb.65:                               ;   in Loop: Header=BB4_21 Depth=1
	v_mul_lo_u32 v8, v8, s92
	v_ashrrev_i32_e32 v1, 31, v0
	v_lshlrev_b64 v[10:11], 4, v[0:1]
	s_waitcnt lgkmcnt(0)
	v_mov_b32_e32 v17, v2
	v_ashrrev_i32_e32 v9, 31, v8
	v_lshlrev_b64 v[8:9], 4, v[8:9]
	s_mov_b64 s[56:57], 0
	v_add_co_u32_e32 v1, vcc, v10, v8
	v_addc_co_u32_e32 v8, vcc, v11, v9, vcc
	v_add_co_u32_e32 v11, vcc, v38, v1
	v_addc_co_u32_e32 v12, vcc, v39, v8, vcc
.LBB4_66:                               ;   Parent Loop BB4_21 Depth=1
                                        ; =>  This Inner Loop Header: Depth=2
	v_mov_b32_e32 v19, v17
	v_mov_b32_e32 v20, v18
	v_add_u32_e32 v0, v0, v29
	global_store_dwordx4 v[11:12], v[17:20], off
	v_add_co_u32_e32 v11, vcc, v11, v5
	v_cmp_le_i32_e64 s[18:19], s92, v0
	s_or_b64 s[56:57], s[18:19], s[56:57]
	v_addc_co_u32_e32 v12, vcc, v12, v6, vcc
	s_andn2_b64 exec, exec, s[56:57]
	s_cbranch_execnz .LBB4_66
.LBB4_67:                               ;   in Loop: Header=BB4_21 Depth=1
	s_or_b64 exec, exec, s[46:47]
	buffer_store_dword v60, off, s[0:3], s32 offset:88 ; 4-byte Folded Spill
	s_nop 0
	buffer_store_dword v61, off, s[0:3], s32 offset:92 ; 4-byte Folded Spill
	buffer_load_dword v0, off, s[0:3], s32 offset:116 ; 4-byte Folded Reload
	buffer_load_dword v1, off, s[0:3], s32 offset:120 ; 4-byte Folded Reload
	v_add_co_u32_e64 v60, s[18:19], 1, v21
	v_addc_co_u32_e64 v61, s[18:19], 0, v22, s[18:19]
	s_waitcnt vmcnt(0)
	v_add_co_u32_e32 v12, vcc, v58, v0
	v_addc_co_u32_e32 v30, vcc, v59, v1, vcc
	s_andn2_b64 vcc, exec, s[42:43]
	s_cbranch_vccnz .LBB4_150
; %bb.68:                               ;   in Loop: Header=BB4_21 Depth=1
	buffer_load_dword v0, off, s[0:3], s32 offset:164 ; 4-byte Folded Reload
	v_add_u16_e32 v31, 1, v21
	s_mov_b32 s35, 2
	buffer_store_dword v12, off, s[0:3], s32 offset:140 ; 4-byte Folded Spill
	buffer_store_dword v30, off, s[0:3], s32 offset:144 ; 4-byte Folded Spill
	s_waitcnt vmcnt(0)
	v_add_co_u32_e32 v32, vcc, v0, v12
	buffer_load_dword v0, off, s[0:3], s32 offset:168 ; 4-byte Folded Reload
	s_waitcnt vmcnt(0)
	v_addc_co_u32_e32 v33, vcc, v0, v30, vcc
	s_branch .LBB4_70
.LBB4_69:                               ;   in Loop: Header=BB4_70 Depth=2
	s_or_b64 exec, exec, s[46:47]
	v_add_co_u32_e32 v36, vcc, 1, v36
	v_addc_co_u32_e32 v37, vcc, 0, v37, vcc
	s_add_i32 s35, s35, 1
	v_add_co_u32_e32 v60, vcc, 1, v60
	v_addc_co_u32_e32 v61, vcc, 0, v61, vcc
	s_cmp_eq_u32 s35, s20
	v_add_u16_e32 v31, 1, v31
	s_cbranch_scc1 .LBB4_149
.LBB4_70:                               ;   Parent Loop BB4_21 Depth=1
                                        ; =>  This Loop Header: Depth=2
                                        ;       Child Loop BB4_75 Depth 3
                                        ;       Child Loop BB4_94 Depth 3
	;; [unrolled: 1-line block ×3, first 2 shown]
                                        ;         Child Loop BB4_118 Depth 4
                                        ;       Child Loop BB4_132 Depth 3
                                        ;       Child Loop BB4_141 Depth 3
	s_sub_i32 s26, s20, s35
	s_lshl_b64 s[18:19], s[26:27], 2
	v_mov_b32_e32 v1, s19
	s_waitcnt vmcnt(0) lgkmcnt(0)
	v_add_co_u32_e32 v0, vcc, s18, v23
	v_addc_co_u32_e32 v1, vcc, v24, v1, vcc
	flat_load_dword v0, v[0:1]
	s_and_saveexec_b64 s[46:47], s[6:7]
	s_cbranch_execz .LBB4_86
; %bb.71:                               ;   in Loop: Header=BB4_70 Depth=2
	v_add_co_u32_e32 v11, vcc, 1, v15
	v_addc_co_u32_e32 v12, vcc, 0, v16, vcc
	s_waitcnt lgkmcnt(0)
	v_add_co_u32_e32 v8, vcc, 8, v54
	v_addc_co_u32_e32 v9, vcc, 0, v55, vcc
	v_cmp_lt_u64_e32 vcc, v[8:9], v[11:12]
	s_and_saveexec_b64 s[56:57], vcc
	s_cbranch_execz .LBB4_83
; %bb.72:                               ;   in Loop: Header=BB4_70 Depth=2
	s_mov_b32 s26, 0
	v_cmp_eq_u32_e32 vcc, 0, v47
	s_mov_b64 s[58:59], 0
                                        ; implicit-def: $sgpr60_sgpr61
                                        ; implicit-def: $sgpr62_sgpr63
                                        ; implicit-def: $sgpr72_sgpr73
	s_branch .LBB4_75
.LBB4_73:                               ;   in Loop: Header=BB4_75 Depth=3
	s_or_b64 exec, exec, s[90:91]
	s_andn2_b64 s[18:19], s[72:73], exec
	s_and_b64 s[72:73], s[78:79], exec
	s_or_b64 s[72:73], s[18:19], s[72:73]
	s_andn2_b64 s[18:19], s[62:63], exec
	s_and_b64 s[62:63], s[76:77], exec
	s_or_b64 s[62:63], s[18:19], s[62:63]
.LBB4_74:                               ;   in Loop: Header=BB4_75 Depth=3
	s_or_b64 exec, exec, s[74:75]
	s_and_b64 s[18:19], exec, s[62:63]
	s_or_b64 s[58:59], s[18:19], s[58:59]
	s_andn2_b64 s[18:19], s[60:61], exec
	s_and_b64 s[60:61], s[72:73], exec
	s_or_b64 s[60:61], s[18:19], s[60:61]
	s_andn2_b64 exec, exec, s[58:59]
	s_cbranch_execz .LBB4_80
.LBB4_75:                               ;   Parent Loop BB4_21 Depth=1
                                        ;     Parent Loop BB4_70 Depth=2
                                        ; =>    This Inner Loop Header: Depth=3
	s_sleep 1
	s_waitcnt vmcnt(0) lgkmcnt(0)
	flat_load_dwordx2 v[54:55], v[52:53] glc
	v_mov_b32_e32 v47, 1
	s_or_b64 s[72:73], s[72:73], exec
	s_or_b64 s[62:63], s[62:63], exec
                                        ; implicit-def: $vgpr1
	s_and_saveexec_b64 s[74:75], vcc
	s_cbranch_execz .LBB4_74
; %bb.76:                               ;   in Loop: Header=BB4_75 Depth=3
	s_add_i32 s26, s26, 1
	s_cmpk_lg_i32 s26, 0x2710
	s_cselect_b64 s[88:89], -1, 0
	s_cmpk_eq_i32 s26, 0x2710
	s_mov_b64 s[76:77], -1
	s_mov_b64 s[78:79], -1
                                        ; implicit-def: $vgpr1
	s_cbranch_scc1 .LBB4_78
; %bb.77:                               ;   in Loop: Header=BB4_75 Depth=3
	v_mov_b32_e32 v47, 1
	s_and_saveexec_b64 s[90:91], s[88:89]
	s_cbranch_execz .LBB4_73
	s_branch .LBB4_79
.LBB4_78:                               ;   in Loop: Header=BB4_75 Depth=3
	s_trap 2
	s_waitcnt vmcnt(0)
	ds_read_b64 v[8:9], v0
	s_andn2_b64 s[88:89], s[88:89], exec
	s_mov_b32 s26, 0
	s_mov_b64 s[78:79], 0
	s_waitcnt lgkmcnt(0)
	flat_load_dword v1, v[8:9] glc
	s_waitcnt vmcnt(0) lgkmcnt(0)
	buffer_wbinvl1_vol
	v_cmp_eq_u32_e64 s[18:19], 0, v1
	s_and_b64 s[18:19], s[18:19], exec
	s_or_b64 s[88:89], s[88:89], s[18:19]
	v_mov_b32_e32 v47, 1
	s_and_saveexec_b64 s[90:91], s[88:89]
	s_cbranch_execz .LBB4_73
.LBB4_79:                               ;   in Loop: Header=BB4_75 Depth=3
	s_waitcnt vmcnt(0) lgkmcnt(0)
	v_add_co_u32_e64 v8, s[18:19], 8, v54
	v_addc_co_u32_e64 v9, s[18:19], 0, v55, s[18:19]
	v_cmp_ge_u64_e64 s[18:19], v[8:9], v[11:12]
	v_mov_b32_e32 v47, 0
	s_or_b64 s[78:79], s[78:79], exec
	s_orn2_b64 s[76:77], s[18:19], exec
	s_branch .LBB4_73
.LBB4_80:                               ;   in Loop: Header=BB4_70 Depth=2
	s_or_b64 exec, exec, s[58:59]
	s_xor_b64 s[18:19], s[60:61], -1
	s_and_saveexec_b64 s[58:59], s[18:19]
	s_xor_b64 s[18:19], exec, s[58:59]
	s_cbranch_execz .LBB4_82
; %bb.81:                               ;   in Loop: Header=BB4_70 Depth=2
	v_mov_b32_e32 v47, 1
	s_waitcnt vmcnt(0) lgkmcnt(0)
	ds_write_b32 v0, v1
	s_trap 2
.LBB4_82:                               ;   in Loop: Header=BB4_70 Depth=2
	s_or_b64 exec, exec, s[18:19]
.LBB4_83:                               ;   in Loop: Header=BB4_70 Depth=2
	s_or_b64 exec, exec, s[56:57]
	s_and_saveexec_b64 s[18:19], s[8:9]
	s_cbranch_execz .LBB4_85
; %bb.84:                               ;   in Loop: Header=BB4_70 Depth=2
	v_and_b32_e32 v1, 0x7ffffff8, v15
	v_cmp_eq_u64_e32 vcc, s[44:45], v[1:2]
	buffer_load_dword v1, off, s[0:3], s32 offset:80 ; 4-byte Folded Reload
	v_and_b32_e32 v8, 7, v15
	v_mad_u64_u32 v[8:9], s[56:57], v8, 24, v[13:14]
	v_mov_b32_e32 v10, s21
	s_waitcnt vmcnt(0)
	v_cndmask_b32_e32 v15, v1, v10, vcc
	v_ashrrev_i32_e32 v16, 31, v15
	flat_store_dwordx2 v[8:9], v[15:16] offset:8
	s_waitcnt vmcnt(0)
.LBB4_85:                               ;   in Loop: Header=BB4_70 Depth=2
	s_or_b64 exec, exec, s[18:19]
	v_mov_b32_e32 v16, v12
	v_mov_b32_e32 v15, v11
.LBB4_86:                               ;   in Loop: Header=BB4_70 Depth=2
	s_or_b64 exec, exec, s[46:47]
	s_and_saveexec_b64 s[18:19], s[10:11]
	s_cbranch_execz .LBB4_105
; %bb.87:                               ;   in Loop: Header=BB4_70 Depth=2
	s_and_saveexec_b64 s[46:47], s[40:41]
	s_xor_b64 s[46:47], exec, s[46:47]
	s_cbranch_execz .LBB4_102
; %bb.88:                               ;   in Loop: Header=BB4_70 Depth=2
	s_and_saveexec_b64 s[56:57], s[12:13]
	s_cbranch_execz .LBB4_101
; %bb.89:                               ;   in Loop: Header=BB4_70 Depth=2
	s_mov_b64 s[60:61], exec
	v_mbcnt_lo_u32_b32 v1, s60, 0
	v_mbcnt_hi_u32_b32 v1, s61, v1
	v_cmp_eq_u32_e32 vcc, 0, v1
	s_waitcnt vmcnt(0) lgkmcnt(0)
	buffer_wbinvl1_vol
	s_and_saveexec_b64 s[58:59], vcc
	s_cbranch_execz .LBB4_91
; %bb.90:                               ;   in Loop: Header=BB4_70 Depth=2
	s_bcnt1_i32_b64 s26, s[60:61]
	v_mov_b32_e32 v1, s26
	ds_add_u64 v0, v[1:2]
	s_trap 2
.LBB4_91:                               ;   in Loop: Header=BB4_70 Depth=2
	s_or_b64 exec, exec, s[58:59]
	s_trap 2
	ds_read_b64 v[8:9], v0
	s_waitcnt lgkmcnt(0)
	buffer_load_dword v1, off, s[0:3], s32 offset:84 ; 4-byte Folded Reload
	s_waitcnt vmcnt(0)
	v_add_co_u32_e32 v44, vcc, v44, v1
	v_addc_co_u32_e32 v45, vcc, 0, v45, vcc
	v_cmp_lt_u64_e32 vcc, v[8:9], v[44:45]
	s_and_saveexec_b64 s[58:59], vcc
	s_cbranch_execz .LBB4_100
; %bb.92:                               ;   in Loop: Header=BB4_70 Depth=2
	s_mov_b32 s26, 0
	s_mov_b64 s[60:61], 0
                                        ; implicit-def: $sgpr62_sgpr63
                                        ; implicit-def: $sgpr72_sgpr73
	s_branch .LBB4_94
.LBB4_93:                               ;   in Loop: Header=BB4_94 Depth=3
	s_or_b64 exec, exec, s[76:77]
	s_and_b64 s[74:75], exec, s[78:79]
	s_or_b64 s[60:61], s[74:75], s[60:61]
	s_andn2_b64 s[62:63], s[62:63], exec
	s_and_b64 s[74:75], s[72:73], exec
	s_or_b64 s[62:63], s[62:63], s[74:75]
	s_andn2_b64 exec, exec, s[60:61]
	s_cbranch_execz .LBB4_98
.LBB4_94:                               ;   Parent Loop BB4_21 Depth=1
                                        ;     Parent Loop BB4_70 Depth=2
                                        ; =>    This Inner Loop Header: Depth=3
	s_add_i32 s26, s26, 1
	s_cmpk_lg_i32 s26, 0x2710
	s_cselect_b64 s[74:75], -1, 0
	s_and_b64 vcc, exec, s[74:75]
	s_cbranch_vccz .LBB4_96
; %bb.95:                               ;   in Loop: Header=BB4_94 Depth=3
	s_mov_b64 s[78:79], -1
	s_or_b64 s[72:73], s[72:73], exec
	s_and_saveexec_b64 s[76:77], s[74:75]
	s_cbranch_execz .LBB4_93
	s_branch .LBB4_97
.LBB4_96:                               ;   in Loop: Header=BB4_94 Depth=3
	s_trap 2
	ds_read_b64 v[8:9], v0
	s_andn2_b64 s[74:75], s[74:75], exec
	s_mov_b32 s26, 0
	s_waitcnt lgkmcnt(0)
	flat_load_dword v1, v[8:9] glc
	s_waitcnt vmcnt(0) lgkmcnt(0)
	buffer_wbinvl1_vol
	v_cmp_eq_u32_e32 vcc, 0, v1
	s_and_b64 s[76:77], vcc, exec
	s_or_b64 s[74:75], s[74:75], s[76:77]
	s_mov_b64 s[78:79], -1
	s_or_b64 s[72:73], s[72:73], exec
	s_and_saveexec_b64 s[76:77], s[74:75]
	s_cbranch_execz .LBB4_93
.LBB4_97:                               ;   in Loop: Header=BB4_94 Depth=3
	s_sleep 1
	s_trap 2
	ds_read_b64 v[8:9], v0
	s_waitcnt lgkmcnt(0)
	s_andn2_b64 s[72:73], s[72:73], exec
	v_cmp_ge_u64_e32 vcc, v[8:9], v[44:45]
	s_orn2_b64 s[78:79], vcc, exec
	s_branch .LBB4_93
.LBB4_98:                               ;   in Loop: Header=BB4_70 Depth=2
	s_or_b64 exec, exec, s[60:61]
	s_and_saveexec_b64 s[60:61], s[62:63]
	s_xor_b64 s[60:61], exec, s[60:61]
	s_cbranch_execz .LBB4_100
; %bb.99:                               ;   in Loop: Header=BB4_70 Depth=2
	v_mov_b32_e32 v1, 1
	ds_write_b32 v0, v1
	s_trap 2
.LBB4_100:                              ;   in Loop: Header=BB4_70 Depth=2
	s_or_b64 exec, exec, s[58:59]
	;;#ASMSTART
	s_wakeup
	;;#ASMEND
.LBB4_101:                              ;   in Loop: Header=BB4_70 Depth=2
	s_or_b64 exec, exec, s[56:57]
.LBB4_102:                              ;   in Loop: Header=BB4_70 Depth=2
	s_andn2_saveexec_b64 s[46:47], s[46:47]
	s_cbranch_execz .LBB4_104
; %bb.103:                              ;   in Loop: Header=BB4_70 Depth=2
	s_waitcnt vmcnt(0) lgkmcnt(0)
	buffer_wbinvl1_vol
	s_barrier
.LBB4_104:                              ;   in Loop: Header=BB4_70 Depth=2
	s_or_b64 exec, exec, s[46:47]
.LBB4_105:                              ;   in Loop: Header=BB4_70 Depth=2
	s_or_b64 exec, exec, s[18:19]
	v_add_u32_e32 v18, 1, v60
	v_mov_b32_e32 v42, v4
	s_and_saveexec_b64 s[46:47], s[16:17]
	s_cbranch_execz .LBB4_124
; %bb.106:                              ;   in Loop: Header=BB4_70 Depth=2
	buffer_load_dword v8, off, s[0:3], s32 offset:60 ; 4-byte Folded Reload
	buffer_load_dword v9, off, s[0:3], s32 offset:72 ; 4-byte Folded Reload
	;; [unrolled: 1-line block ×3, first 2 shown]
	s_waitcnt vmcnt(0) lgkmcnt(0)
	v_ashrrev_i32_e32 v1, 31, v0
	v_mad_u64_u32 v[11:12], s[18:19], v3, v0, v[32:33]
	v_mul_lo_u32 v1, v3, v1
	v_add_u32_e32 v30, 1, v36
	s_mov_b64 s[56:57], 0
	v_mov_b32_e32 v42, v4
	v_mul_lo_u32 v8, v8, v0
	v_and_b32_e32 v0, 7, v36
	v_mul_lo_u32 v0, v0, s92
	v_add3_u32 v12, v8, v12, v1
	v_and_b32_e32 v8, 7, v60
	v_mul_lo_u32 v8, v8, s92
	v_ashrrev_i32_e32 v1, 31, v0
	v_lshlrev_b64 v[0:1], 4, v[0:1]
	v_add_co_u32_e32 v40, vcc, v9, v0
	v_ashrrev_i32_e32 v9, 31, v8
	v_addc_co_u32_e32 v41, vcc, v10, v1, vcc
	v_lshlrev_b64 v[0:1], 4, v[8:9]
	v_mov_b32_e32 v8, v62
	v_add_co_u32_e32 v50, vcc, v38, v0
	v_addc_co_u32_e32 v51, vcc, v39, v1, vcc
	s_branch .LBB4_110
.LBB4_107:                              ;   in Loop: Header=BB4_110 Depth=3
	s_or_b64 exec, exec, s[18:19]
.LBB4_108:                              ;   in Loop: Header=BB4_110 Depth=3
	s_or_b64 exec, exec, s[60:61]
.LBB4_109:                              ;   in Loop: Header=BB4_110 Depth=3
	s_or_b64 exec, exec, s[58:59]
	v_add_co_u32_e32 v25, vcc, v11, v7
	v_lshlrev_b32_e32 v11, 3, v11
	v_addc_co_u32_e32 v26, vcc, 0, v12, vcc
	s_waitcnt vmcnt(1)
	v_alignbit_b32 v12, v10, v17, v11
	v_alignbit_b32 v9, v9, v10, v11
	v_lshrrev_b32_e32 v10, 8, v12
	v_lshrrev_b32_e32 v11, 24, v12
	v_mul_lo_u32 v10, v46, v10
	v_mul_lo_u32 v11, v56, v11
	v_mul_lo_u32 v17, v27, v12
	v_lshrrev_b32_e32 v12, 16, v12
	v_mul_lo_u32 v12, v57, v12
	v_and_or_b32 v10, v10, s93, v11
	v_lshrrev_b32_e32 v11, 8, v9
	s_waitcnt vmcnt(0)
	v_lshrrev_b32_e32 v20, 24, v9
	v_mul_lo_u32 v22, v27, v9
	v_lshrrev_b32_e32 v9, 16, v9
	v_mul_lo_u32 v9, v57, v9
	v_mul_lo_u32 v11, v46, v11
	;; [unrolled: 1-line block ×3, first 2 shown]
	v_and_or_b32 v12, v17, s30, v12
	v_and_b32_e32 v17, 0xff00ff00, v19
	v_add_u32_e32 v10, v10, v17
	v_and_b32_e32 v17, 0xff00ff, v21
	v_and_or_b32 v9, v22, s30, v9
	v_and_or_b32 v11, v11, s93, v20
	v_and_b32_e32 v20, 0xff00ff, v19
	v_add_u32_e32 v9, v9, v17
	v_and_b32_e32 v17, 0xff00ff00, v21
	v_add_co_u32_e32 v0, vcc, v50, v0
	v_add_u32_e32 v12, v12, v20
	v_add_u32_e32 v11, v11, v17
	v_addc_co_u32_e32 v1, vcc, v51, v1, vcc
	v_sub_u32_e32 v8, v8, v7
	v_perm_b32 v17, v10, v12, s31
	v_perm_b32 v19, v11, v9, s31
	v_cmp_gt_i32_e32 vcc, 1, v8
	v_mov_b32_e32 v11, v25
	v_mov_b32_e32 v20, v18
	v_add_u32_e32 v42, v42, v29
	s_or_b64 s[56:57], vcc, s[56:57]
	v_mov_b32_e32 v12, v26
	global_store_dwordx4 v[0:1], v[17:20], off
	s_andn2_b64 exec, exec, s[56:57]
	s_cbranch_execz .LBB4_136
.LBB4_110:                              ;   Parent Loop BB4_21 Depth=1
                                        ;     Parent Loop BB4_70 Depth=2
                                        ; =>    This Loop Header: Depth=3
                                        ;         Child Loop BB4_118 Depth 4
	v_and_b32_e32 v19, -4, v11
	v_mov_b32_e32 v20, v12
	global_load_dword v17, v[19:20], off glc slc
	v_min_u32_e32 v0, 8, v8
	v_and_b32_e32 v1, 3, v11
	v_add_u32_e32 v1, v1, v0
	v_cmp_lt_u32_e32 vcc, 4, v1
	v_mov_b32_e32 v9, 0
	v_mov_b32_e32 v10, 0
	s_and_saveexec_b64 s[18:19], vcc
	s_cbranch_execz .LBB4_112
; %bb.111:                              ;   in Loop: Header=BB4_110 Depth=3
	global_load_dword v10, v[19:20], off offset:4 glc slc
.LBB4_112:                              ;   in Loop: Header=BB4_110 Depth=3
	s_or_b64 exec, exec, s[18:19]
	v_cmp_lt_u64_e32 vcc, 8, v[1:2]
	s_and_saveexec_b64 s[18:19], vcc
	s_cbranch_execz .LBB4_114
; %bb.113:                              ;   in Loop: Header=BB4_110 Depth=3
	global_load_dword v9, v[19:20], off offset:8 glc slc
.LBB4_114:                              ;   in Loop: Header=BB4_110 Depth=3
	s_or_b64 exec, exec, s[18:19]
	v_mov_b32_e32 v43, v2
	v_lshlrev_b64 v[0:1], 4, v[42:43]
	v_add_co_u32_e32 v25, vcc, v40, v0
	v_addc_co_u32_e32 v26, vcc, v41, v1, vcc
	global_load_dwordx4 v[19:22], v[25:26], off glc slc
	v_cmp_eq_u32_e32 vcc, 0, v47
	v_mov_b32_e32 v47, 1
	s_and_saveexec_b64 s[58:59], vcc
	s_cbranch_execz .LBB4_109
; %bb.115:                              ;   in Loop: Header=BB4_110 Depth=3
	s_waitcnt vmcnt(0)
	v_cmp_ne_u32_e32 vcc, v30, v20
	v_cmp_ne_u32_e64 s[18:19], v30, v22
	s_or_b64 s[18:19], vcc, s[18:19]
	v_mov_b32_e32 v47, 0
	s_and_saveexec_b64 s[60:61], s[18:19]
	s_cbranch_execz .LBB4_108
; %bb.116:                              ;   in Loop: Header=BB4_110 Depth=3
	s_mov_b32 s26, 1
	s_mov_b64 s[72:73], 0
                                        ; implicit-def: $sgpr62_sgpr63
                                        ; implicit-def: $sgpr74_sgpr75
	s_branch .LBB4_118
.LBB4_117:                              ;   in Loop: Header=BB4_118 Depth=4
	s_or_b64 exec, exec, s[78:79]
	s_and_b64 s[18:19], exec, s[18:19]
	s_or_b64 s[72:73], s[18:19], s[72:73]
	s_andn2_b64 s[18:19], s[62:63], exec
	s_and_b64 s[62:63], s[74:75], exec
	s_or_b64 s[62:63], s[18:19], s[62:63]
	s_andn2_b64 exec, exec, s[72:73]
	s_cbranch_execz .LBB4_122
.LBB4_118:                              ;   Parent Loop BB4_21 Depth=1
                                        ;     Parent Loop BB4_70 Depth=2
                                        ;       Parent Loop BB4_110 Depth=3
                                        ; =>      This Inner Loop Header: Depth=4
	global_load_dwordx4 v[19:22], v[25:26], off glc slc
	s_add_i32 s26, s26, 1
	s_mov_b64 s[18:19], -1
	s_cmpk_lg_i32 s26, 0x2710
	s_mov_b64 s[76:77], -1
                                        ; implicit-def: $vgpr43
	s_cbranch_scc0 .LBB4_120
; %bb.119:                              ;   in Loop: Header=BB4_118 Depth=4
	s_or_b64 s[74:75], s[74:75], exec
	s_and_saveexec_b64 s[78:79], s[76:77]
	s_cbranch_execz .LBB4_117
	s_branch .LBB4_121
.LBB4_120:                              ;   in Loop: Header=BB4_118 Depth=4
	s_trap 2
	ds_read_b64 v[34:35], v0
	s_mov_b32 s26, 0
	s_waitcnt vmcnt(0) lgkmcnt(0)
	flat_load_dword v43, v[34:35] glc
	s_waitcnt vmcnt(0) lgkmcnt(0)
	buffer_wbinvl1_vol
	v_cmp_eq_u32_e32 vcc, 0, v43
	s_orn2_b64 s[76:77], vcc, exec
	s_or_b64 s[74:75], s[74:75], exec
	s_and_saveexec_b64 s[78:79], s[76:77]
	s_cbranch_execz .LBB4_117
.LBB4_121:                              ;   in Loop: Header=BB4_118 Depth=4
	s_waitcnt vmcnt(0)
	v_cmp_eq_u32_e32 vcc, v30, v20
	v_cmp_eq_u32_e64 s[18:19], v30, v22
	s_and_b64 s[18:19], vcc, s[18:19]
	s_andn2_b64 s[74:75], s[74:75], exec
	s_orn2_b64 s[18:19], s[18:19], exec
	s_branch .LBB4_117
.LBB4_122:                              ;   in Loop: Header=BB4_110 Depth=3
	s_or_b64 exec, exec, s[72:73]
	v_mov_b32_e32 v47, 0
	s_and_saveexec_b64 s[18:19], s[62:63]
	s_xor_b64 s[18:19], exec, s[18:19]
	s_cbranch_execz .LBB4_107
; %bb.123:                              ;   in Loop: Header=BB4_110 Depth=3
	v_mov_b32_e32 v47, 1
	ds_write_b32 v0, v43
	s_trap 2
	s_branch .LBB4_107
.LBB4_124:                              ;   in Loop: Header=BB4_70 Depth=2
	s_or_b64 exec, exec, s[46:47]
	s_and_saveexec_b64 s[18:19], s[10:11]
	s_cbranch_execz .LBB4_137
.LBB4_125:                              ;   in Loop: Header=BB4_70 Depth=2
	s_and_saveexec_b64 s[46:47], s[40:41]
	s_xor_b64 s[46:47], exec, s[46:47]
	s_cbranch_execz .LBB4_146
; %bb.126:                              ;   in Loop: Header=BB4_70 Depth=2
	s_and_saveexec_b64 s[56:57], s[12:13]
	s_cbranch_execz .LBB4_145
; %bb.127:                              ;   in Loop: Header=BB4_70 Depth=2
	s_mov_b64 s[60:61], exec
	s_waitcnt vmcnt(0) lgkmcnt(0)
	v_mbcnt_lo_u32_b32 v0, s60, 0
	v_mbcnt_hi_u32_b32 v0, s61, v0
	v_cmp_eq_u32_e32 vcc, 0, v0
	buffer_wbinvl1_vol
	s_and_saveexec_b64 s[58:59], vcc
	s_cbranch_execz .LBB4_129
; %bb.128:                              ;   in Loop: Header=BB4_70 Depth=2
	s_bcnt1_i32_b64 s26, s[60:61]
	v_mov_b32_e32 v1, s26
	ds_add_u64 v0, v[1:2]
	s_trap 2
.LBB4_129:                              ;   in Loop: Header=BB4_70 Depth=2
	s_or_b64 exec, exec, s[58:59]
	s_trap 2
	ds_read_b64 v[0:1], v0
	s_waitcnt lgkmcnt(0)
	buffer_load_dword v8, off, s[0:3], s32 offset:84 ; 4-byte Folded Reload
	s_waitcnt vmcnt(0)
	v_add_co_u32_e32 v44, vcc, v44, v8
	v_addc_co_u32_e32 v45, vcc, 0, v45, vcc
	v_cmp_lt_u64_e32 vcc, v[0:1], v[44:45]
	s_and_saveexec_b64 s[58:59], vcc
	s_cbranch_execz .LBB4_144
; %bb.130:                              ;   in Loop: Header=BB4_70 Depth=2
	s_mov_b32 s26, 0
	s_mov_b64 s[60:61], 0
                                        ; implicit-def: $sgpr62_sgpr63
                                        ; implicit-def: $sgpr72_sgpr73
	s_branch .LBB4_132
.LBB4_131:                              ;   in Loop: Header=BB4_132 Depth=3
	s_or_b64 exec, exec, s[76:77]
	s_and_b64 s[74:75], exec, s[78:79]
	s_or_b64 s[60:61], s[74:75], s[60:61]
	s_andn2_b64 s[62:63], s[62:63], exec
	s_and_b64 s[74:75], s[72:73], exec
	s_or_b64 s[62:63], s[62:63], s[74:75]
	s_andn2_b64 exec, exec, s[60:61]
	s_cbranch_execz .LBB4_142
.LBB4_132:                              ;   Parent Loop BB4_21 Depth=1
                                        ;     Parent Loop BB4_70 Depth=2
                                        ; =>    This Inner Loop Header: Depth=3
	s_add_i32 s26, s26, 1
	s_cmpk_lg_i32 s26, 0x2710
	s_cselect_b64 s[74:75], -1, 0
	s_and_b64 vcc, exec, s[74:75]
	s_cbranch_vccz .LBB4_134
; %bb.133:                              ;   in Loop: Header=BB4_132 Depth=3
	s_mov_b64 s[78:79], -1
	s_or_b64 s[72:73], s[72:73], exec
	s_and_saveexec_b64 s[76:77], s[74:75]
	s_cbranch_execz .LBB4_131
	s_branch .LBB4_135
.LBB4_134:                              ;   in Loop: Header=BB4_132 Depth=3
	s_trap 2
	ds_read_b64 v[0:1], v0
	s_andn2_b64 s[74:75], s[74:75], exec
	s_mov_b32 s26, 0
	s_waitcnt lgkmcnt(0)
	flat_load_dword v0, v[0:1] glc
	s_waitcnt vmcnt(0) lgkmcnt(0)
	buffer_wbinvl1_vol
	v_cmp_eq_u32_e32 vcc, 0, v0
	s_and_b64 s[76:77], vcc, exec
	s_or_b64 s[74:75], s[74:75], s[76:77]
	s_mov_b64 s[78:79], -1
	s_or_b64 s[72:73], s[72:73], exec
	s_and_saveexec_b64 s[76:77], s[74:75]
	s_cbranch_execz .LBB4_131
.LBB4_135:                              ;   in Loop: Header=BB4_132 Depth=3
	s_sleep 1
	s_trap 2
	ds_read_b64 v[0:1], v0
	s_waitcnt lgkmcnt(0)
	s_andn2_b64 s[72:73], s[72:73], exec
	v_cmp_ge_u64_e32 vcc, v[0:1], v[44:45]
	s_orn2_b64 s[78:79], vcc, exec
	s_branch .LBB4_131
.LBB4_136:                              ;   in Loop: Header=BB4_70 Depth=2
	s_or_b64 exec, exec, s[56:57]
	s_or_b64 exec, exec, s[46:47]
	s_and_saveexec_b64 s[18:19], s[10:11]
	s_cbranch_execnz .LBB4_125
.LBB4_137:                              ;   in Loop: Header=BB4_70 Depth=2
	s_or_b64 exec, exec, s[18:19]
	s_and_saveexec_b64 s[18:19], s[14:15]
	s_cbranch_execz .LBB4_139
.LBB4_138:                              ;   in Loop: Header=BB4_70 Depth=2
	s_waitcnt lgkmcnt(0)
	buffer_load_dword v0, off, s[0:3], s32 offset:64 ; 4-byte Folded Reload
	buffer_load_dword v1, off, s[0:3], s32 offset:68 ; 4-byte Folded Reload
	v_add_co_u32_e32 v48, vcc, 1, v48
	v_addc_co_u32_e32 v49, vcc, 0, v49, vcc
	s_waitcnt vmcnt(0)
	flat_store_dwordx2 v[0:1], v[48:49]
.LBB4_139:                              ;   in Loop: Header=BB4_70 Depth=2
	s_or_b64 exec, exec, s[18:19]
	v_and_b32_e32 v1, 0x7ffffff8, v60
	v_cmp_eq_u64_e32 vcc, s[44:45], v[1:2]
	v_cmp_gt_i32_e64 s[18:19], s92, v42
	s_and_b64 s[18:19], vcc, s[18:19]
	s_and_saveexec_b64 s[46:47], s[18:19]
	s_cbranch_execz .LBB4_69
; %bb.140:                              ;   in Loop: Header=BB4_70 Depth=2
	s_waitcnt vmcnt(0) lgkmcnt(0)
	v_and_b32_e32 v0, 7, v31
	v_mul_lo_u32 v0, s92, v0
	v_ashrrev_i32_e32 v43, 31, v42
	v_lshlrev_b64 v[8:9], 4, v[42:43]
	v_mov_b32_e32 v17, v2
	v_ashrrev_i32_e32 v1, 31, v0
	v_lshlrev_b64 v[0:1], 4, v[0:1]
	s_mov_b64 s[56:57], 0
	v_add_co_u32_e32 v0, vcc, v8, v0
	v_addc_co_u32_e32 v1, vcc, v9, v1, vcc
	v_add_co_u32_e32 v0, vcc, v38, v0
	v_addc_co_u32_e32 v1, vcc, v39, v1, vcc
.LBB4_141:                              ;   Parent Loop BB4_21 Depth=1
                                        ;     Parent Loop BB4_70 Depth=2
                                        ; =>    This Inner Loop Header: Depth=3
	v_mov_b32_e32 v19, v17
	v_mov_b32_e32 v20, v18
	v_add_u32_e32 v42, v42, v29
	global_store_dwordx4 v[0:1], v[17:20], off
	v_add_co_u32_e32 v0, vcc, v0, v5
	v_cmp_le_i32_e64 s[18:19], s92, v42
	s_or_b64 s[56:57], s[18:19], s[56:57]
	v_addc_co_u32_e32 v1, vcc, v1, v6, vcc
	s_andn2_b64 exec, exec, s[56:57]
	s_cbranch_execnz .LBB4_141
	s_branch .LBB4_69
.LBB4_142:                              ;   in Loop: Header=BB4_70 Depth=2
	s_or_b64 exec, exec, s[60:61]
	s_and_saveexec_b64 s[60:61], s[62:63]
	s_xor_b64 s[60:61], exec, s[60:61]
	s_cbranch_execz .LBB4_144
; %bb.143:                              ;   in Loop: Header=BB4_70 Depth=2
	v_mov_b32_e32 v0, 1
	ds_write_b32 v0, v0
	s_trap 2
.LBB4_144:                              ;   in Loop: Header=BB4_70 Depth=2
	s_or_b64 exec, exec, s[58:59]
	;;#ASMSTART
	s_wakeup
	;;#ASMEND
.LBB4_145:                              ;   in Loop: Header=BB4_70 Depth=2
	s_or_b64 exec, exec, s[56:57]
.LBB4_146:                              ;   in Loop: Header=BB4_70 Depth=2
	s_andn2_saveexec_b64 s[46:47], s[46:47]
	s_cbranch_execz .LBB4_148
; %bb.147:                              ;   in Loop: Header=BB4_70 Depth=2
	s_waitcnt vmcnt(0) lgkmcnt(0)
	buffer_wbinvl1_vol
	s_barrier
.LBB4_148:                              ;   in Loop: Header=BB4_70 Depth=2
	s_or_b64 exec, exec, s[46:47]
	s_or_b64 exec, exec, s[18:19]
	s_and_saveexec_b64 s[18:19], s[14:15]
	s_cbranch_execnz .LBB4_138
	s_branch .LBB4_139
.LBB4_149:                              ;   in Loop: Header=BB4_21 Depth=1
	buffer_load_dword v32, off, s[0:3], s32 offset:96 ; 4-byte Folded Reload
	buffer_load_dword v33, off, s[0:3], s32 offset:100 ; 4-byte Folded Reload
	;; [unrolled: 1-line block ×6, first 2 shown]
.LBB4_150:                              ;   in Loop: Header=BB4_21 Depth=1
	v_mov_b32_e32 v21, v60
	v_mov_b32_e32 v22, v61
	buffer_load_dword v41, off, s[0:3], s32 offset:124 ; 4-byte Folded Reload
	buffer_load_dword v42, off, s[0:3], s32 offset:128 ; 4-byte Folded Reload
	;; [unrolled: 1-line block ×4, first 2 shown]
	s_and_saveexec_b64 s[18:19], s[16:17]
	s_cbranch_execz .LBB4_187
; %bb.151:                              ;   in Loop: Header=BB4_21 Depth=1
	flat_load_dword v8, v[23:24]
	s_waitcnt lgkmcnt(0)
	buffer_load_dword v17, off, s[0:3], s32 offset:148 ; 4-byte Folded Reload
	buffer_load_dword v18, off, s[0:3], s32 offset:152 ; 4-byte Folded Reload
	;; [unrolled: 1-line block ×4, first 2 shown]
	v_add_u32_e32 v40, 1, v36
	s_mov_b64 s[46:47], 0
	s_waitcnt vmcnt(0)
	v_ashrrev_i32_e32 v9, 31, v8
	v_mov_b32_e32 v10, v19
	v_add_co_u32_e32 v0, vcc, v10, v12
	buffer_load_dword v10, off, s[0:3], s32 offset:60 ; 4-byte Folded Reload
	v_mov_b32_e32 v11, v20
	v_addc_co_u32_e32 v1, vcc, v11, v30, vcc
	v_mad_u64_u32 v[0:1], s[16:17], v3, v8, v[0:1]
	v_mul_lo_u32 v9, v3, v9
	s_waitcnt vmcnt(0)
	v_mul_lo_u32 v10, v10, v8
	buffer_load_dword v8, off, s[0:3], s32 offset:112 ; 4-byte Folded Reload
	v_add3_u32 v1, v10, v1, v9
	s_waitcnt vmcnt(0)
	v_add_co_u32_e32 v25, vcc, v0, v8
	buffer_load_dword v0, off, s[0:3], s32 offset:172 ; 4-byte Folded Reload
	v_addc_co_u32_e32 v26, vcc, 0, v1, vcc
	s_waitcnt vmcnt(0)
	v_add_co_u32_e32 v32, vcc, v0, v12
	buffer_load_dword v0, off, s[0:3], s32 offset:176 ; 4-byte Folded Reload
	buffer_load_dword v8, off, s[0:3], s32 offset:72 ; 4-byte Folded Reload
	;; [unrolled: 1-line block ×3, first 2 shown]
	s_waitcnt vmcnt(2)
	v_addc_co_u32_e32 v33, vcc, v0, v30, vcc
	v_and_b32_e32 v0, 7, v36
	v_mul_lo_u32 v0, v0, s92
	v_ashrrev_i32_e32 v1, 31, v0
	v_lshlrev_b64 v[0:1], 4, v[0:1]
	s_waitcnt vmcnt(1)
	v_add_co_u32_e32 v30, vcc, v8, v0
	s_waitcnt vmcnt(0)
	v_addc_co_u32_e32 v31, vcc, v9, v1, vcc
	v_mov_b32_e32 v0, v4
	s_branch .LBB4_153
.LBB4_152:                              ;   in Loop: Header=BB4_153 Depth=2
	v_add_co_u32_e32 v25, vcc, v25, v7
	v_addc_co_u32_e32 v26, vcc, 0, v26, vcc
	v_add_co_u32_e32 v32, vcc, v32, v7
	v_addc_co_u32_e32 v33, vcc, 0, v33, vcc
	v_sub_u32_e32 v62, v62, v7
	v_cmp_gt_i32_e32 vcc, 1, v62
	s_or_b64 s[46:47], vcc, s[46:47]
	v_add_u32_e32 v0, v0, v29
	s_andn2_b64 exec, exec, s[46:47]
	s_cbranch_execz .LBB4_199
.LBB4_153:                              ;   Parent Loop BB4_21 Depth=1
                                        ; =>  This Loop Header: Depth=2
                                        ;       Child Loop BB4_161 Depth 3
	v_and_b32_e32 v11, -4, v25
	v_mov_b32_e32 v12, v26
	global_load_dword v8, v[11:12], off glc slc
	v_min_u32_e32 v1, 8, v62
	v_and_b32_e32 v9, 3, v25
	v_add_u32_e32 v1, v9, v1
	v_cmp_lt_u32_e32 vcc, 4, v1
	v_mov_b32_e32 v9, 0
	v_mov_b32_e32 v10, 0
	s_and_saveexec_b64 s[16:17], vcc
	s_cbranch_execz .LBB4_155
; %bb.154:                              ;   in Loop: Header=BB4_153 Depth=2
	global_load_dword v10, v[11:12], off offset:4 glc slc
.LBB4_155:                              ;   in Loop: Header=BB4_153 Depth=2
	s_or_b64 exec, exec, s[16:17]
	v_cmp_lt_u64_e32 vcc, 8, v[1:2]
	s_and_saveexec_b64 s[16:17], vcc
	s_cbranch_execz .LBB4_157
; %bb.156:                              ;   in Loop: Header=BB4_153 Depth=2
	global_load_dword v9, v[11:12], off offset:8 glc slc
.LBB4_157:                              ;   in Loop: Header=BB4_153 Depth=2
	s_or_b64 exec, exec, s[16:17]
	v_mov_b32_e32 v1, v2
	v_lshlrev_b64 v[11:12], 4, v[0:1]
	v_add_co_u32_e32 v11, vcc, v30, v11
	v_addc_co_u32_e32 v12, vcc, v31, v12, vcc
	global_load_dwordx4 v[17:20], v[11:12], off glc slc
	v_cmp_eq_u32_e32 vcc, 0, v47
	v_mov_b32_e32 v47, 1
	s_and_saveexec_b64 s[56:57], vcc
	s_cbranch_execz .LBB4_169
; %bb.158:                              ;   in Loop: Header=BB4_153 Depth=2
	s_waitcnt vmcnt(0)
	v_cmp_ne_u32_e32 vcc, v40, v18
	v_cmp_ne_u32_e64 s[16:17], v40, v20
	s_or_b64 s[16:17], vcc, s[16:17]
	v_mov_b32_e32 v47, 0
	s_and_saveexec_b64 s[58:59], s[16:17]
	s_cbranch_execz .LBB4_168
; %bb.159:                              ;   in Loop: Header=BB4_153 Depth=2
	s_mov_b32 s26, 1
	s_mov_b64 s[62:63], 0
                                        ; implicit-def: $sgpr60_sgpr61
                                        ; implicit-def: $sgpr72_sgpr73
	s_branch .LBB4_161
.LBB4_160:                              ;   in Loop: Header=BB4_161 Depth=3
	s_or_b64 exec, exec, s[76:77]
	s_and_b64 s[16:17], exec, s[16:17]
	s_or_b64 s[62:63], s[16:17], s[62:63]
	s_andn2_b64 s[16:17], s[60:61], exec
	s_and_b64 s[60:61], s[72:73], exec
	s_or_b64 s[60:61], s[16:17], s[60:61]
	s_andn2_b64 exec, exec, s[62:63]
	s_cbranch_execz .LBB4_165
.LBB4_161:                              ;   Parent Loop BB4_21 Depth=1
                                        ;     Parent Loop BB4_153 Depth=2
                                        ; =>    This Inner Loop Header: Depth=3
	global_load_dwordx4 v[17:20], v[11:12], off glc slc
	s_add_i32 s26, s26, 1
	s_mov_b64 s[16:17], -1
	s_cmpk_lg_i32 s26, 0x2710
	s_mov_b64 s[74:75], -1
                                        ; implicit-def: $vgpr1
	s_cbranch_scc0 .LBB4_163
; %bb.162:                              ;   in Loop: Header=BB4_161 Depth=3
	s_or_b64 s[72:73], s[72:73], exec
	s_and_saveexec_b64 s[76:77], s[74:75]
	s_cbranch_execz .LBB4_160
	s_branch .LBB4_164
.LBB4_163:                              ;   in Loop: Header=BB4_161 Depth=3
	s_trap 2
	ds_read_b64 v[50:51], v0
	s_mov_b32 s26, 0
	s_waitcnt vmcnt(0) lgkmcnt(0)
	flat_load_dword v1, v[50:51] glc
	s_waitcnt vmcnt(0) lgkmcnt(0)
	buffer_wbinvl1_vol
	v_cmp_eq_u32_e32 vcc, 0, v1
	s_orn2_b64 s[74:75], vcc, exec
	s_or_b64 s[72:73], s[72:73], exec
	s_and_saveexec_b64 s[76:77], s[74:75]
	s_cbranch_execz .LBB4_160
.LBB4_164:                              ;   in Loop: Header=BB4_161 Depth=3
	s_waitcnt vmcnt(0)
	v_cmp_eq_u32_e32 vcc, v40, v18
	v_cmp_eq_u32_e64 s[16:17], v40, v20
	s_and_b64 s[16:17], vcc, s[16:17]
	s_andn2_b64 s[72:73], s[72:73], exec
	s_orn2_b64 s[16:17], s[16:17], exec
	s_branch .LBB4_160
.LBB4_165:                              ;   in Loop: Header=BB4_153 Depth=2
	s_or_b64 exec, exec, s[62:63]
	v_mov_b32_e32 v47, 0
	s_and_saveexec_b64 s[16:17], s[60:61]
	s_xor_b64 s[16:17], exec, s[16:17]
	s_cbranch_execz .LBB4_167
; %bb.166:                              ;   in Loop: Header=BB4_153 Depth=2
	v_mov_b32_e32 v47, 1
	ds_write_b32 v0, v1
	s_trap 2
.LBB4_167:                              ;   in Loop: Header=BB4_153 Depth=2
	s_or_b64 exec, exec, s[16:17]
.LBB4_168:                              ;   in Loop: Header=BB4_153 Depth=2
	s_or_b64 exec, exec, s[58:59]
.LBB4_169:                              ;   in Loop: Header=BB4_153 Depth=2
	s_or_b64 exec, exec, s[56:57]
	v_lshlrev_b32_e32 v1, 3, v25
	s_waitcnt vmcnt(0)
	v_alignbit_b32 v8, v10, v8, v1
	v_alignbit_b32 v1, v9, v10, v1
	v_lshrrev_b32_e32 v9, 8, v8
	v_lshrrev_b32_e32 v10, 24, v8
	v_mul_lo_u32 v9, v46, v9
	v_mul_lo_u32 v10, v56, v10
	;; [unrolled: 1-line block ×3, first 2 shown]
	v_lshrrev_b32_e32 v8, 16, v8
	v_mul_lo_u32 v8, v57, v8
	v_perm_b32 v9, v10, v9, s34
	v_lshrrev_b32_e32 v10, 8, v1
	v_lshrrev_b32_e32 v12, 24, v1
	s_waitcnt vmcnt(0)
	v_mul_lo_u32 v18, v27, v1
	v_lshrrev_b32_e32 v1, 16, v1
	v_mul_lo_u32 v20, v57, v1
	v_mul_lo_u32 v10, v46, v10
	;; [unrolled: 1-line block ×3, first 2 shown]
	v_and_b32_e32 v1, 0xff00ff, v17
	v_perm_b32 v8, v8, v11, s94
	v_add_u32_e32 v1, v1, v8
	v_and_b32_e32 v8, 0xff00ff00, v17
	v_add_co_u32_e32 v8, vcc, v8, v9
	v_and_b32_e32 v9, 0xff00ff, v19
	v_perm_b32 v11, v20, v18, s94
	v_perm_b32 v10, v12, v10, s34
	v_add_u32_e32 v9, v9, v11
	v_and_b32_e32 v11, 0xff00ff00, v19
	v_add_co_u32_e32 v10, vcc, v11, v10
	v_cmp_lt_u32_e32 vcc, 7, v62
	s_cmp_lg_u64 vcc, exec
	s_mov_b64 s[16:17], -1
	s_cbranch_scc0 .LBB4_179
; %bb.170:                              ;   in Loop: Header=BB4_153 Depth=2
	v_cmp_ne_u32_e64 s[16:17], 1, v62
	flat_store_byte v[32:33], v1
	s_and_saveexec_b64 s[56:57], s[16:17]
	s_cbranch_execz .LBB4_181
; %bb.171:                              ;   in Loop: Header=BB4_153 Depth=2
	v_lshrrev_b32_e32 v11, 8, v8
	flat_store_byte v[32:33], v11 offset:1
	s_or_b64 exec, exec, s[56:57]
	v_cmp_lt_u32_e64 s[16:17], 2, v62
	s_and_saveexec_b64 s[56:57], s[16:17]
	s_cbranch_execnz .LBB4_182
.LBB4_172:                              ;   in Loop: Header=BB4_153 Depth=2
	s_or_b64 exec, exec, s[56:57]
	v_cmp_lt_u32_e64 s[16:17], 3, v62
	s_and_saveexec_b64 s[56:57], s[16:17]
	s_cbranch_execz .LBB4_183
.LBB4_173:                              ;   in Loop: Header=BB4_153 Depth=2
	v_lshrrev_b32_e32 v11, 24, v8
	flat_store_byte v[32:33], v11 offset:3
	s_or_b64 exec, exec, s[56:57]
	v_cmp_lt_u32_e64 s[16:17], 4, v62
	s_and_saveexec_b64 s[56:57], s[16:17]
	s_cbranch_execnz .LBB4_184
.LBB4_174:                              ;   in Loop: Header=BB4_153 Depth=2
	s_or_b64 exec, exec, s[56:57]
	v_cmp_lt_u32_e64 s[16:17], 5, v62
	s_and_saveexec_b64 s[56:57], s[16:17]
	s_cbranch_execz .LBB4_185
.LBB4_175:                              ;   in Loop: Header=BB4_153 Depth=2
	v_lshrrev_b32_e32 v11, 8, v10
	flat_store_byte v[32:33], v11 offset:5
	s_or_b64 exec, exec, s[56:57]
	v_cmp_lt_u32_e64 s[16:17], 6, v62
	s_and_saveexec_b64 s[56:57], s[16:17]
	s_cbranch_execnz .LBB4_186
.LBB4_176:                              ;   in Loop: Header=BB4_153 Depth=2
	s_or_b64 exec, exec, s[56:57]
	s_and_saveexec_b64 s[16:17], vcc
	s_cbranch_execz .LBB4_178
.LBB4_177:                              ;   in Loop: Header=BB4_153 Depth=2
	v_lshrrev_b32_e32 v11, 24, v10
	flat_store_byte v[32:33], v11 offset:7
.LBB4_178:                              ;   in Loop: Header=BB4_153 Depth=2
	s_or_b64 exec, exec, s[16:17]
	s_mov_b64 s[16:17], 0
.LBB4_179:                              ;   in Loop: Header=BB4_153 Depth=2
	s_and_b64 vcc, exec, s[16:17]
	s_cbranch_vccz .LBB4_152
; %bb.180:                              ;   in Loop: Header=BB4_153 Depth=2
	v_and_b32_e32 v8, 0xff00ff00, v8
	v_perm_b32 v9, v10, v9, s31
	v_and_b32_e32 v1, 0xff00ff, v1
	v_or3_b32 v9, v9, 0, 0
	v_or3_b32 v8, 0, v1, v8
	global_store_dwordx2 v[32:33], v[8:9], off
	s_branch .LBB4_152
.LBB4_181:                              ;   in Loop: Header=BB4_153 Depth=2
	s_or_b64 exec, exec, s[56:57]
	v_cmp_lt_u32_e64 s[16:17], 2, v62
	s_and_saveexec_b64 s[56:57], s[16:17]
	s_cbranch_execz .LBB4_172
.LBB4_182:                              ;   in Loop: Header=BB4_153 Depth=2
	flat_store_byte_d16_hi v[32:33], v1 offset:2
	s_or_b64 exec, exec, s[56:57]
	v_cmp_lt_u32_e64 s[16:17], 3, v62
	s_and_saveexec_b64 s[56:57], s[16:17]
	s_cbranch_execnz .LBB4_173
.LBB4_183:                              ;   in Loop: Header=BB4_153 Depth=2
	s_or_b64 exec, exec, s[56:57]
	v_cmp_lt_u32_e64 s[16:17], 4, v62
	s_and_saveexec_b64 s[56:57], s[16:17]
	s_cbranch_execz .LBB4_174
.LBB4_184:                              ;   in Loop: Header=BB4_153 Depth=2
	flat_store_byte v[32:33], v9 offset:4
	s_or_b64 exec, exec, s[56:57]
	v_cmp_lt_u32_e64 s[16:17], 5, v62
	s_and_saveexec_b64 s[56:57], s[16:17]
	s_cbranch_execnz .LBB4_175
.LBB4_185:                              ;   in Loop: Header=BB4_153 Depth=2
	s_or_b64 exec, exec, s[56:57]
	v_cmp_lt_u32_e64 s[16:17], 6, v62
	s_and_saveexec_b64 s[56:57], s[16:17]
	s_cbranch_execz .LBB4_176
.LBB4_186:                              ;   in Loop: Header=BB4_153 Depth=2
	flat_store_byte_d16_hi v[32:33], v9 offset:6
	s_or_b64 exec, exec, s[56:57]
	s_and_saveexec_b64 s[16:17], vcc
	s_cbranch_execnz .LBB4_177
	s_branch .LBB4_178
.LBB4_187:                              ;   in Loop: Header=BB4_21 Depth=1
	s_or_b64 exec, exec, s[18:19]
	s_and_saveexec_b64 s[16:17], s[10:11]
	s_cbranch_execz .LBB4_200
.LBB4_188:                              ;   in Loop: Header=BB4_21 Depth=1
	s_and_saveexec_b64 s[18:19], s[40:41]
	s_xor_b64 s[18:19], exec, s[18:19]
	s_cbranch_execz .LBB4_205
; %bb.189:                              ;   in Loop: Header=BB4_21 Depth=1
	s_and_saveexec_b64 s[46:47], s[12:13]
	s_cbranch_execz .LBB4_204
; %bb.190:                              ;   in Loop: Header=BB4_21 Depth=1
	s_mov_b64 s[58:59], exec
	s_waitcnt vmcnt(0) lgkmcnt(0)
	v_mbcnt_lo_u32_b32 v0, s58, 0
	v_mbcnt_hi_u32_b32 v0, s59, v0
	v_cmp_eq_u32_e32 vcc, 0, v0
	buffer_wbinvl1_vol
	s_and_saveexec_b64 s[56:57], vcc
	s_cbranch_execz .LBB4_192
; %bb.191:                              ;   in Loop: Header=BB4_21 Depth=1
	s_bcnt1_i32_b64 s26, s[58:59]
	v_mov_b32_e32 v1, s26
	ds_add_u64 v0, v[1:2]
	s_trap 2
.LBB4_192:                              ;   in Loop: Header=BB4_21 Depth=1
	s_or_b64 exec, exec, s[56:57]
	s_trap 2
	ds_read_b64 v[0:1], v0
	s_waitcnt lgkmcnt(0)
	buffer_load_dword v8, off, s[0:3], s32 offset:84 ; 4-byte Folded Reload
	s_waitcnt vmcnt(0)
	v_add_co_u32_e32 v44, vcc, v44, v8
	v_addc_co_u32_e32 v45, vcc, 0, v45, vcc
	v_cmp_lt_u64_e32 vcc, v[0:1], v[44:45]
	s_and_saveexec_b64 s[56:57], vcc
	s_cbranch_execz .LBB4_203
; %bb.193:                              ;   in Loop: Header=BB4_21 Depth=1
	s_mov_b32 s26, 0
	s_mov_b64 s[58:59], 0
                                        ; implicit-def: $sgpr60_sgpr61
                                        ; implicit-def: $sgpr62_sgpr63
	s_branch .LBB4_195
.LBB4_194:                              ;   in Loop: Header=BB4_195 Depth=2
	s_or_b64 exec, exec, s[74:75]
	s_and_b64 s[72:73], exec, s[76:77]
	s_or_b64 s[58:59], s[72:73], s[58:59]
	s_andn2_b64 s[60:61], s[60:61], exec
	s_and_b64 s[72:73], s[62:63], exec
	s_or_b64 s[60:61], s[60:61], s[72:73]
	s_andn2_b64 exec, exec, s[58:59]
	s_cbranch_execz .LBB4_201
.LBB4_195:                              ;   Parent Loop BB4_21 Depth=1
                                        ; =>  This Inner Loop Header: Depth=2
	s_add_i32 s26, s26, 1
	s_cmpk_lg_i32 s26, 0x2710
	s_cselect_b64 s[72:73], -1, 0
	s_and_b64 vcc, exec, s[72:73]
	s_cbranch_vccz .LBB4_197
; %bb.196:                              ;   in Loop: Header=BB4_195 Depth=2
	s_mov_b64 s[76:77], -1
	s_or_b64 s[62:63], s[62:63], exec
	s_and_saveexec_b64 s[74:75], s[72:73]
	s_cbranch_execz .LBB4_194
	s_branch .LBB4_198
.LBB4_197:                              ;   in Loop: Header=BB4_195 Depth=2
	s_trap 2
	ds_read_b64 v[0:1], v0
	s_andn2_b64 s[72:73], s[72:73], exec
	s_mov_b32 s26, 0
	s_waitcnt lgkmcnt(0)
	flat_load_dword v0, v[0:1] glc
	s_waitcnt vmcnt(0) lgkmcnt(0)
	buffer_wbinvl1_vol
	v_cmp_eq_u32_e32 vcc, 0, v0
	s_and_b64 s[74:75], vcc, exec
	s_or_b64 s[72:73], s[72:73], s[74:75]
	s_mov_b64 s[76:77], -1
	s_or_b64 s[62:63], s[62:63], exec
	s_and_saveexec_b64 s[74:75], s[72:73]
	s_cbranch_execz .LBB4_194
.LBB4_198:                              ;   in Loop: Header=BB4_195 Depth=2
	s_sleep 1
	s_trap 2
	ds_read_b64 v[0:1], v0
	s_waitcnt lgkmcnt(0)
	s_andn2_b64 s[62:63], s[62:63], exec
	v_cmp_ge_u64_e32 vcc, v[0:1], v[44:45]
	s_orn2_b64 s[76:77], vcc, exec
	s_branch .LBB4_194
.LBB4_199:                              ;   in Loop: Header=BB4_21 Depth=1
	s_or_b64 exec, exec, s[46:47]
	buffer_load_dword v32, off, s[0:3], s32 offset:96 ; 4-byte Folded Reload
	buffer_load_dword v33, off, s[0:3], s32 offset:100 ; 4-byte Folded Reload
	;; [unrolled: 1-line block ×4, first 2 shown]
	s_or_b64 exec, exec, s[18:19]
	s_and_saveexec_b64 s[16:17], s[10:11]
	s_cbranch_execnz .LBB4_188
.LBB4_200:                              ;   in Loop: Header=BB4_21 Depth=1
	s_or_b64 exec, exec, s[16:17]
	s_and_saveexec_b64 s[16:17], s[14:15]
	s_cbranch_execz .LBB4_20
	s_branch .LBB4_208
.LBB4_201:                              ;   in Loop: Header=BB4_21 Depth=1
	s_or_b64 exec, exec, s[58:59]
	s_and_saveexec_b64 s[58:59], s[60:61]
	s_xor_b64 s[58:59], exec, s[58:59]
	s_cbranch_execz .LBB4_203
; %bb.202:                              ;   in Loop: Header=BB4_21 Depth=1
	v_mov_b32_e32 v0, 1
	ds_write_b32 v0, v0
	s_trap 2
.LBB4_203:                              ;   in Loop: Header=BB4_21 Depth=1
	s_or_b64 exec, exec, s[56:57]
	;;#ASMSTART
	s_wakeup
	;;#ASMEND
.LBB4_204:                              ;   in Loop: Header=BB4_21 Depth=1
	s_or_b64 exec, exec, s[46:47]
.LBB4_205:                              ;   in Loop: Header=BB4_21 Depth=1
	s_andn2_saveexec_b64 s[18:19], s[18:19]
	s_cbranch_execz .LBB4_207
; %bb.206:                              ;   in Loop: Header=BB4_21 Depth=1
	s_waitcnt vmcnt(0) lgkmcnt(0)
	buffer_wbinvl1_vol
	s_barrier
.LBB4_207:                              ;   in Loop: Header=BB4_21 Depth=1
	s_or_b64 exec, exec, s[18:19]
	s_or_b64 exec, exec, s[16:17]
	s_and_saveexec_b64 s[16:17], s[14:15]
	s_cbranch_execz .LBB4_20
.LBB4_208:                              ;   in Loop: Header=BB4_21 Depth=1
	s_waitcnt lgkmcnt(0)
	buffer_load_dword v0, off, s[0:3], s32 offset:64 ; 4-byte Folded Reload
	buffer_load_dword v1, off, s[0:3], s32 offset:68 ; 4-byte Folded Reload
	v_add_co_u32_e32 v48, vcc, 1, v48
	v_addc_co_u32_e32 v49, vcc, 0, v49, vcc
	s_waitcnt vmcnt(0)
	flat_store_dwordx2 v[0:1], v[48:49]
	s_branch .LBB4_20
.LBB4_209:
	s_or_b64 exec, exec, s[28:29]
	buffer_load_dword v31, off, s[0:3], s32 offset:188 ; 4-byte Folded Reload
	buffer_load_dword v19, off, s[0:3], s32 offset:192 ; 4-byte Folded Reload
	;; [unrolled: 1-line block ×6, first 2 shown]
.LBB4_210:
	s_or_b64 exec, exec, s[24:25]
	s_and_saveexec_b64 s[6:7], s[22:23]
	s_cbranch_execz .LBB4_213
; %bb.211:
	s_waitcnt vmcnt(0) lgkmcnt(0)
	flat_store_dwordx2 v[25:26], v[48:49] offset:104
	s_or_b64 exec, exec, s[6:7]
	s_and_saveexec_b64 s[6:7], s[4:5]
	s_cbranch_execnz .LBB4_214
.LBB4_212:
	s_or_b64 exec, exec, s[6:7]
	v_cmp_ne_u32_e32 vcc, 64, v29
	s_and_saveexec_b64 s[4:5], vcc
	s_cbranch_execnz .LBB4_215
	s_branch .LBB4_232
.LBB4_213:
	s_or_b64 exec, exec, s[6:7]
	s_and_saveexec_b64 s[6:7], s[4:5]
	s_cbranch_execz .LBB4_212
.LBB4_214:
	s_waitcnt vmcnt(0) lgkmcnt(0)
	flat_store_dwordx2 v[11:12], v[15:16] offset:104
	s_or_b64 exec, exec, s[6:7]
	v_cmp_ne_u32_e32 vcc, 64, v29
	s_and_saveexec_b64 s[4:5], vcc
	s_cbranch_execz .LBB4_232
.LBB4_215:
	s_waitcnt vmcnt(0)
	v_cmp_ne_u32_sdwa s[6:7], v29, v19 src0_sel:DWORD src1_sel:WORD_0
	s_and_saveexec_b64 s[8:9], s[6:7]
	s_xor_b64 s[6:7], exec, s[8:9]
	s_cbranch_execz .LBB4_230
; %bb.216:
	s_waitcnt lgkmcnt(0)
	v_and_b32_e32 v0, 63, v31
	v_cmp_eq_u32_e32 vcc, 0, v0
	s_and_saveexec_b64 s[8:9], vcc
	s_cbranch_execz .LBB4_229
; %bb.217:
	s_mov_b64 s[12:13], exec
	v_mbcnt_lo_u32_b32 v0, s12, 0
	v_mbcnt_hi_u32_b32 v0, s13, v0
	v_cmp_eq_u32_e32 vcc, 0, v0
	buffer_wbinvl1_vol
	s_and_saveexec_b64 s[10:11], vcc
	s_cbranch_execz .LBB4_219
; %bb.218:
	s_bcnt1_i32_b64 s12, s[12:13]
	v_mov_b32_e32 v0, s12
	v_mov_b32_e32 v1, 0
	ds_add_u64 v0, v[0:1]
	s_trap 2
.LBB4_219:
	s_or_b64 exec, exec, s[10:11]
	v_lshrrev_b32_e32 v0, 6, v29
	s_trap 2
	ds_read_b64 v[2:3], v0
	s_waitcnt lgkmcnt(0)
	v_add_co_u32_e32 v0, vcc, v44, v0
	v_addc_co_u32_e32 v1, vcc, 0, v45, vcc
	v_cmp_lt_u64_e32 vcc, v[2:3], v[0:1]
	s_and_saveexec_b64 s[10:11], vcc
	s_cbranch_execz .LBB4_228
; %bb.220:
	s_mov_b32 s24, 0
	s_mov_b64 s[12:13], 0
                                        ; implicit-def: $sgpr14_sgpr15
                                        ; implicit-def: $sgpr16_sgpr17
	s_branch .LBB4_222
.LBB4_221:                              ;   in Loop: Header=BB4_222 Depth=1
	s_or_b64 exec, exec, s[20:21]
	s_and_b64 s[18:19], exec, s[22:23]
	s_or_b64 s[12:13], s[18:19], s[12:13]
	s_andn2_b64 s[14:15], s[14:15], exec
	s_and_b64 s[18:19], s[16:17], exec
	s_or_b64 s[14:15], s[14:15], s[18:19]
	s_andn2_b64 exec, exec, s[12:13]
	s_cbranch_execz .LBB4_226
.LBB4_222:                              ; =>This Inner Loop Header: Depth=1
	s_add_i32 s24, s24, 1
	s_cmpk_lg_i32 s24, 0x2710
	s_cselect_b64 s[18:19], -1, 0
	s_and_b64 vcc, exec, s[18:19]
	s_cbranch_vccz .LBB4_224
; %bb.223:                              ;   in Loop: Header=BB4_222 Depth=1
	s_mov_b64 s[22:23], -1
	s_or_b64 s[16:17], s[16:17], exec
	s_and_saveexec_b64 s[20:21], s[18:19]
	s_cbranch_execz .LBB4_221
	s_branch .LBB4_225
.LBB4_224:                              ;   in Loop: Header=BB4_222 Depth=1
	s_trap 2
	ds_read_b64 v[2:3], v0
	s_andn2_b64 s[18:19], s[18:19], exec
	s_mov_b32 s24, 0
	s_waitcnt lgkmcnt(0)
	flat_load_dword v2, v[2:3] glc
	s_waitcnt vmcnt(0) lgkmcnt(0)
	buffer_wbinvl1_vol
	v_cmp_eq_u32_e32 vcc, 0, v2
	s_and_b64 s[20:21], vcc, exec
	s_or_b64 s[18:19], s[18:19], s[20:21]
	s_mov_b64 s[22:23], -1
	s_or_b64 s[16:17], s[16:17], exec
	s_and_saveexec_b64 s[20:21], s[18:19]
	s_cbranch_execz .LBB4_221
.LBB4_225:                              ;   in Loop: Header=BB4_222 Depth=1
	s_sleep 1
	s_trap 2
	ds_read_b64 v[2:3], v0
	s_waitcnt lgkmcnt(0)
	s_andn2_b64 s[16:17], s[16:17], exec
	v_cmp_ge_u64_e32 vcc, v[2:3], v[0:1]
	s_orn2_b64 s[22:23], vcc, exec
	s_branch .LBB4_221
.LBB4_226:
	s_or_b64 exec, exec, s[12:13]
	s_and_saveexec_b64 s[12:13], s[14:15]
	s_xor_b64 s[12:13], exec, s[12:13]
	s_cbranch_execz .LBB4_228
; %bb.227:
	v_mov_b32_e32 v0, 1
	ds_write_b32 v0, v0
	s_trap 2
.LBB4_228:
	s_or_b64 exec, exec, s[10:11]
	;;#ASMSTART
	s_wakeup
	;;#ASMEND
.LBB4_229:
	s_or_b64 exec, exec, s[8:9]
.LBB4_230:
	s_andn2_saveexec_b64 s[6:7], s[6:7]
	s_cbranch_execz .LBB4_232
; %bb.231:
	s_waitcnt lgkmcnt(0)
	buffer_wbinvl1_vol
	s_barrier
.LBB4_232:
	s_or_b64 exec, exec, s[4:5]
	buffer_load_dword v62, off, s[0:3], s32 ; 4-byte Folded Reload
	buffer_load_dword v61, off, s[0:3], s32 offset:4 ; 4-byte Folded Reload
	buffer_load_dword v60, off, s[0:3], s32 offset:8 ; 4-byte Folded Reload
	;; [unrolled: 1-line block ×14, first 2 shown]
	v_readlane_b32 s30, v63, 2
	v_readlane_b32 s31, v63, 3
	;; [unrolled: 1-line block ×4, first 2 shown]
	s_or_saveexec_b64 s[4:5], -1
	buffer_load_dword v63, off, s[0:3], s32 offset:212 ; 4-byte Folded Reload
	s_mov_b64 exec, s[4:5]
	s_waitcnt vmcnt(0) lgkmcnt(0)
	s_setpc_b64 s[30:31]
.Lfunc_end4:
	.size	_ZN12_GLOBAL__N_17runRingIh13FuncPreMulSumIhE7ProtoLLLi0ELi4ELi0EEEviiP15ncclDevWorkColl, .Lfunc_end4-_ZN12_GLOBAL__N_17runRingIh13FuncPreMulSumIhE7ProtoLLLi0ELi4ELi0EEEviiP15ncclDevWorkColl
                                        ; -- End function
	.set .L_ZN12_GLOBAL__N_17runRingIh13FuncPreMulSumIhE7ProtoLLLi0ELi4ELi0EEEviiP15ncclDevWorkColl.num_vgpr, 64
	.set .L_ZN12_GLOBAL__N_17runRingIh13FuncPreMulSumIhE7ProtoLLLi0ELi4ELi0EEEviiP15ncclDevWorkColl.num_agpr, 0
	.set .L_ZN12_GLOBAL__N_17runRingIh13FuncPreMulSumIhE7ProtoLLLi0ELi4ELi0EEEviiP15ncclDevWorkColl.numbered_sgpr, 96
	.set .L_ZN12_GLOBAL__N_17runRingIh13FuncPreMulSumIhE7ProtoLLLi0ELi4ELi0EEEviiP15ncclDevWorkColl.num_named_barrier, 0
	.set .L_ZN12_GLOBAL__N_17runRingIh13FuncPreMulSumIhE7ProtoLLLi0ELi4ELi0EEEviiP15ncclDevWorkColl.private_seg_size, 220
	.set .L_ZN12_GLOBAL__N_17runRingIh13FuncPreMulSumIhE7ProtoLLLi0ELi4ELi0EEEviiP15ncclDevWorkColl.uses_vcc, 1
	.set .L_ZN12_GLOBAL__N_17runRingIh13FuncPreMulSumIhE7ProtoLLLi0ELi4ELi0EEEviiP15ncclDevWorkColl.uses_flat_scratch, 0
	.set .L_ZN12_GLOBAL__N_17runRingIh13FuncPreMulSumIhE7ProtoLLLi0ELi4ELi0EEEviiP15ncclDevWorkColl.has_dyn_sized_stack, 0
	.set .L_ZN12_GLOBAL__N_17runRingIh13FuncPreMulSumIhE7ProtoLLLi0ELi4ELi0EEEviiP15ncclDevWorkColl.has_recursion, 0
	.set .L_ZN12_GLOBAL__N_17runRingIh13FuncPreMulSumIhE7ProtoLLLi0ELi4ELi0EEEviiP15ncclDevWorkColl.has_indirect_call, 0
	.section	.AMDGPU.csdata,"",@progbits
; Function info:
; codeLenInByte = 8684
; TotalNumSgprs: 100
; NumVgprs: 64
; ScratchSize: 220
; MemoryBound: 0
	.text
	.p2align	2                               ; -- Begin function _Z52ncclDevFunc_ReduceScatter_RING_LL_PreMulSum_u8_0_0_4v
	.type	_Z52ncclDevFunc_ReduceScatter_RING_LL_PreMulSum_u8_0_0_4v,@function
_Z52ncclDevFunc_ReduceScatter_RING_LL_PreMulSum_u8_0_0_4v: ; @_Z52ncclDevFunc_ReduceScatter_RING_LL_PreMulSum_u8_0_0_4v
; %bb.0:
	s_waitcnt vmcnt(0) expcnt(0) lgkmcnt(0)
	s_mov_b32 s4, s33
	s_mov_b32 s33, s32
	s_or_saveexec_b64 s[6:7], -1
	buffer_store_dword v43, off, s[0:3], s33 offset:16 ; 4-byte Folded Spill
	s_mov_b64 exec, s[6:7]
	v_writelane_b32 v43, s4, 10
	s_addk_i32 s32, 0x800
	buffer_store_dword v40, off, s[0:3], s33 offset:12 ; 4-byte Folded Spill
	buffer_store_dword v41, off, s[0:3], s33 offset:8 ; 4-byte Folded Spill
	;; [unrolled: 1-line block ×3, first 2 shown]
	buffer_store_dword v63, off, s[0:3], s33 ; 4-byte Folded Spill
	v_writelane_b32 v43, s34, 0
	v_writelane_b32 v43, s35, 1
	;; [unrolled: 1-line block ×10, first 2 shown]
	s_trap 2
	ds_read_b32 v0, v0
	v_mov_b32_e32 v40, v31
	v_and_b32_e32 v41, 0x3ff, v40
	s_mov_b32 s38, s12
	s_mov_b64 s[36:37], s[8:9]
	s_waitcnt lgkmcnt(0)
	v_cmp_lt_i32_e32 vcc, v41, v0
	s_and_saveexec_b64 s[4:5], vcc
	s_cbranch_execz .LBB5_5
; %bb.1:
	s_load_dword s6, s[36:37], 0x0
	v_mov_b32_e32 v1, 0
	s_mov_b32 s10, 0
	v_mov_b32_e32 v4, v41
                                        ; implicit-def: $vgpr3
	s_waitcnt lgkmcnt(0)
	s_cmp_lt_u32 s38, s6
	s_cselect_b32 s6, 12, 18
	s_add_u32 s6, s36, s6
	s_addc_u32 s7, s37, 0
	global_load_ushort v1, v1, s[6:7]
	s_trap 2
	ds_read_b32 v2, v0
	s_mov_b64 s[6:7], 0
	s_waitcnt vmcnt(0) lgkmcnt(0)
	v_mul_lo_u32 v2, v2, v1
	s_branch .LBB5_3
.LBB5_2:                                ;   in Loop: Header=BB5_3 Depth=1
	s_or_b64 exec, exec, s[8:9]
	v_add_u32_e32 v4, v4, v1
	v_cmp_ge_i32_e32 vcc, v4, v0
	s_or_b64 s[6:7], vcc, s[6:7]
	v_add_u32_e32 v3, v3, v2
	s_andn2_b64 exec, exec, s[6:7]
	s_cbranch_execz .LBB5_5
.LBB5_3:                                ; =>This Inner Loop Header: Depth=1
	ds_read_b32 v5, v3
	s_waitcnt lgkmcnt(0)
	v_and_b32_e32 v5, 0x1000000, v5
	v_cmp_ne_u32_e32 vcc, 0, v5
	s_and_saveexec_b64 s[8:9], vcc
	s_cbranch_execz .LBB5_2
; %bb.4:                                ;   in Loop: Header=BB5_3 Depth=1
	ds_read_b64 v[5:6], v3 offset:104
	s_waitcnt lgkmcnt(0)
	flat_load_ubyte v5, v[5:6]
	v_mov_b32_e32 v6, s10
	s_waitcnt vmcnt(0) lgkmcnt(0)
	v_and_b32_e32 v5, 0xffff, v5
	ds_write_b64 v3, v[5:6] offset:104
	s_branch .LBB5_2
.LBB5_5:
	s_or_b64 exec, exec, s[4:5]
	s_waitcnt vmcnt(0) lgkmcnt(0)
	s_barrier
	s_trap 2
	ds_read_b32 v0, v0
	s_waitcnt lgkmcnt(0)
	v_cmp_gt_i32_e32 vcc, 1, v0
	s_cbranch_vccnz .LBB5_13
; %bb.6:
	s_mov_b32 s39, 0
	v_mov_b32_e32 v42, 6
	s_branch .LBB5_8
.LBB5_7:                                ;   in Loop: Header=BB5_8 Depth=1
	s_or_b64 exec, exec, s[48:49]
	s_trap 2
	ds_read_b32 v0, v0
	s_add_i32 s39, s39, 1
	s_waitcnt lgkmcnt(0)
	v_cmp_lt_i32_e32 vcc, s39, v0
	s_cbranch_vccz .LBB5_13
.LBB5_8:                                ; =>This Inner Loop Header: Depth=1
	s_trap 2
	ds_read_b32 v0, v0
	s_cmp_eq_u32 s39, 0
	s_cbranch_scc1 .LBB5_11
; %bb.9:                                ;   in Loop: Header=BB5_8 Depth=1
	s_trap 2
	s_waitcnt lgkmcnt(0)
	ds_read_b32 v1, v0
	s_waitcnt lgkmcnt(0)
	v_xor_b32_e32 v1, v1, v0
	v_and_b32_e32 v1, 0xff0000, v1
	v_cmp_eq_u32_e32 vcc, 0, v1
	s_cbranch_vccnz .LBB5_11
; %bb.10:                               ;   in Loop: Header=BB5_8 Depth=1
	s_barrier
	ds_read_b32 v0, v0
.LBB5_11:                               ;   in Loop: Header=BB5_8 Depth=1
	s_waitcnt lgkmcnt(0)
	v_lshlrev_b32_sdwa v1, v42, v0 dst_sel:DWORD dst_unused:UNUSED_PAD src0_sel:DWORD src1_sel:BYTE_2
	v_cmp_lt_u32_e32 vcc, v41, v1
	s_and_saveexec_b64 s[48:49], vcc
	s_cbranch_execz .LBB5_7
; %bb.12:                               ;   in Loop: Header=BB5_8 Depth=1
	s_mov_b64 s[4:5], src_shared_base
	s_getpc_b64 s[6:7]
	s_add_u32 s6, s6, _ZN12_GLOBAL__N_17runRingIh13FuncPreMulSumIhE7ProtoLLLi0ELi4ELi0EEEviiP15ncclDevWorkColl@rel32@lo+4
	s_addc_u32 s7, s7, _ZN12_GLOBAL__N_17runRingIh13FuncPreMulSumIhE7ProtoLLLi0ELi4ELi0EEEviiP15ncclDevWorkColl@rel32@hi+12
	s_mov_b64 s[8:9], s[36:37]
	s_mov_b32 s12, s38
	v_mov_b32_e32 v31, v40
	v_mov_b32_e32 v0, v41
	;; [unrolled: 1-line block ×3, first 2 shown]
	s_swappc_b64 s[30:31], s[6:7]
	s_branch .LBB5_7
.LBB5_13:
	buffer_load_dword v63, off, s[0:3], s33 ; 4-byte Folded Reload
	buffer_load_dword v42, off, s[0:3], s33 offset:4 ; 4-byte Folded Reload
	buffer_load_dword v41, off, s[0:3], s33 offset:8 ; 4-byte Folded Reload
	;; [unrolled: 1-line block ×3, first 2 shown]
	v_readlane_b32 s30, v43, 8
	v_readlane_b32 s31, v43, 9
	;; [unrolled: 1-line block ×10, first 2 shown]
	s_mov_b32 s32, s33
	v_readlane_b32 s4, v43, 10
	s_or_saveexec_b64 s[6:7], -1
	buffer_load_dword v43, off, s[0:3], s33 offset:16 ; 4-byte Folded Reload
	s_mov_b64 exec, s[6:7]
	s_mov_b32 s33, s4
	s_waitcnt vmcnt(0)
	s_setpc_b64 s[30:31]
.Lfunc_end5:
	.size	_Z52ncclDevFunc_ReduceScatter_RING_LL_PreMulSum_u8_0_0_4v, .Lfunc_end5-_Z52ncclDevFunc_ReduceScatter_RING_LL_PreMulSum_u8_0_0_4v
                                        ; -- End function
	.set .L_Z52ncclDevFunc_ReduceScatter_RING_LL_PreMulSum_u8_0_0_4v.num_vgpr, max(64, .L_ZN12_GLOBAL__N_17runRingIh13FuncPreMulSumIhE7ProtoLLLi0ELi4ELi0EEEviiP15ncclDevWorkColl.num_vgpr)
	.set .L_Z52ncclDevFunc_ReduceScatter_RING_LL_PreMulSum_u8_0_0_4v.num_agpr, max(0, .L_ZN12_GLOBAL__N_17runRingIh13FuncPreMulSumIhE7ProtoLLLi0ELi4ELi0EEEviiP15ncclDevWorkColl.num_agpr)
	.set .L_Z52ncclDevFunc_ReduceScatter_RING_LL_PreMulSum_u8_0_0_4v.numbered_sgpr, max(50, .L_ZN12_GLOBAL__N_17runRingIh13FuncPreMulSumIhE7ProtoLLLi0ELi4ELi0EEEviiP15ncclDevWorkColl.numbered_sgpr)
	.set .L_Z52ncclDevFunc_ReduceScatter_RING_LL_PreMulSum_u8_0_0_4v.num_named_barrier, max(0, .L_ZN12_GLOBAL__N_17runRingIh13FuncPreMulSumIhE7ProtoLLLi0ELi4ELi0EEEviiP15ncclDevWorkColl.num_named_barrier)
	.set .L_Z52ncclDevFunc_ReduceScatter_RING_LL_PreMulSum_u8_0_0_4v.private_seg_size, 32+max(.L_ZN12_GLOBAL__N_17runRingIh13FuncPreMulSumIhE7ProtoLLLi0ELi4ELi0EEEviiP15ncclDevWorkColl.private_seg_size)
	.set .L_Z52ncclDevFunc_ReduceScatter_RING_LL_PreMulSum_u8_0_0_4v.uses_vcc, or(1, .L_ZN12_GLOBAL__N_17runRingIh13FuncPreMulSumIhE7ProtoLLLi0ELi4ELi0EEEviiP15ncclDevWorkColl.uses_vcc)
	.set .L_Z52ncclDevFunc_ReduceScatter_RING_LL_PreMulSum_u8_0_0_4v.uses_flat_scratch, or(0, .L_ZN12_GLOBAL__N_17runRingIh13FuncPreMulSumIhE7ProtoLLLi0ELi4ELi0EEEviiP15ncclDevWorkColl.uses_flat_scratch)
	.set .L_Z52ncclDevFunc_ReduceScatter_RING_LL_PreMulSum_u8_0_0_4v.has_dyn_sized_stack, or(0, .L_ZN12_GLOBAL__N_17runRingIh13FuncPreMulSumIhE7ProtoLLLi0ELi4ELi0EEEviiP15ncclDevWorkColl.has_dyn_sized_stack)
	.set .L_Z52ncclDevFunc_ReduceScatter_RING_LL_PreMulSum_u8_0_0_4v.has_recursion, or(1, .L_ZN12_GLOBAL__N_17runRingIh13FuncPreMulSumIhE7ProtoLLLi0ELi4ELi0EEEviiP15ncclDevWorkColl.has_recursion)
	.set .L_Z52ncclDevFunc_ReduceScatter_RING_LL_PreMulSum_u8_0_0_4v.has_indirect_call, or(0, .L_ZN12_GLOBAL__N_17runRingIh13FuncPreMulSumIhE7ProtoLLLi0ELi4ELi0EEEviiP15ncclDevWorkColl.has_indirect_call)
	.section	.AMDGPU.csdata,"",@progbits
; Function info:
; codeLenInByte = 768
; TotalNumSgprs: 100
; NumVgprs: 64
; ScratchSize: 252
; MemoryBound: 0
	.section	.AMDGPU.gpr_maximums,"",@progbits
	.set amdgpu.max_num_vgpr, 64
	.set amdgpu.max_num_agpr, 0
	.set amdgpu.max_num_sgpr, 96
	.section	.AMDGPU.csdata,"",@progbits
	.type	__hip_cuid_56640747c5b16ba3,@object ; @__hip_cuid_56640747c5b16ba3
	.section	.bss,"aw",@nobits
	.globl	__hip_cuid_56640747c5b16ba3
__hip_cuid_56640747c5b16ba3:
	.byte	0                               ; 0x0
	.size	__hip_cuid_56640747c5b16ba3, 1

	.ident	"AMD clang version 22.0.0git (https://github.com/RadeonOpenCompute/llvm-project roc-7.2.4 26084 f58b06dce1f9c15707c5f808fd002e18c2accf7e)"
	.section	".note.GNU-stack","",@progbits
	.addrsig
	.addrsig_sym _Z52ncclDevFunc_ReduceScatter_RING_LL_PreMulSum_u8_0_0_1v
	.addrsig_sym _Z52ncclDevFunc_ReduceScatter_RING_LL_PreMulSum_u8_0_0_2v
	.addrsig_sym _Z52ncclDevFunc_ReduceScatter_RING_LL_PreMulSum_u8_0_0_4v
	.addrsig_sym ncclShmem
	.addrsig_sym __hip_cuid_56640747c5b16ba3
	.amdgpu_metadata
---
amdhsa.kernels:  []
amdhsa.target:   amdgcn-amd-amdhsa--gfx906
amdhsa.version:
  - 1
  - 2
...

	.end_amdgpu_metadata
